;; amdgpu-corpus repo=ROCm/aiter kind=harvested arch=n/a opt=n/a

/root/src/amdgpu-assembly/repos/ROCm__aiter/hsa/gfx950/fmha_v3_bwd/bwd_hd64_bf16_causal_br_a32_rtna_pssk_group.co:	file format elf64-amdgpu

Disassembly of section .text:

0000000000004000 <_ZN5aiter58fmha_bwd_hd64_bf16_causal_br_a32_rtna_pssk_group_recompileE>:
	s_and_b32 s1, s1, 0xffff                                   // 000000004000: 8601FF01 0000FFFF
	s_load_dwordx2 s[32:33], s[0:1], 0x0                       // 000000004008: C0060800 00000000
	s_load_dwordx2 s[36:37], s[0:1], 0x10                      // 000000004010: C0060900 00000010
	s_load_dwordx2 s[40:41], s[0:1], 0x20                      // 000000004018: C0060A00 00000020
	s_load_dwordx2 s[8:9], s[0:1], 0x30                        // 000000004020: C0060200 00000030
	s_load_dwordx2 s[12:13], s[0:1], 0x40                      // 000000004028: C0060300 00000040
	s_load_dwordx2 s[16:17], s[0:1], 0x50                      // 000000004030: C0060400 00000050
	s_load_dwordx2 s[20:21], s[0:1], 0x60                      // 000000004038: C0060500 00000060
	s_load_dwordx2 s[24:25], s[0:1], 0x70                      // 000000004040: C0060600 00000070
	s_load_dwordx2 s[28:29], s[0:1], 0x80                      // 000000004048: C0060700 00000080
	s_load_dword s47, s[0:1], 0x90                             // 000000004050: C0020BC0 00000090
	s_load_dword s48, s[0:1], 0xa0                             // 000000004058: C0020C00 000000A0
	s_load_dword s78, s[0:1], 0xd0                             // 000000004060: C0021380 000000D0
	s_load_dword s5, s[0:1], 0xf0                              // 000000004068: C0020140 000000F0
	s_load_dword s44, s[0:1], 0x100                            // 000000004070: C0020B00 00000100
	s_load_dword s79, s[0:1], 0x110                            // 000000004078: C00213C0 00000110
	s_load_dword s6, s[0:1], 0x130                             // 000000004080: C0020180 00000130
	s_load_dword s52, s[0:1], 0x140                            // 000000004088: C0020D00 00000140
	s_load_dword s80, s[0:1], 0x190                            // 000000004090: C0021400 00000190
	s_load_dword s7, s[0:1], 0x1b0                             // 000000004098: C00201C0 000001B0
	s_load_dword s81, s[0:1], 0x1c0                            // 0000000040A0: C0021440 000001C0
	s_load_dword s51, s[0:1], 0x1e0                            // 0000000040A8: C0020CC0 000001E0
	s_load_dword s82, s[0:1], 0x1f0                            // 0000000040B0: C0021480 000001F0
	s_load_dword s83, s[0:1], 0x210                            // 0000000040B8: C00214C0 00000210
	s_load_dword s53, s[0:1], 0x230                            // 0000000040C0: C0020D40 00000230
	s_load_dword s49, s[0:1], 0x240                            // 0000000040C8: C0020C40 00000240
	s_load_dwordx2 s[88:89], s[0:1], 0x250                     // 0000000040D0: C0061600 00000250
	s_load_dwordx2 s[92:93], s[0:1], 0x260                     // 0000000040D8: C0061700 00000260
	s_load_dwordx2 s[96:97], s[0:1], 0x270                     // 0000000040E0: C0061800 00000270
	s_load_dwordx2 s[100:101], s[0:1], 0x280                   // 0000000040E8: C0061900 00000280
	v_lshrrev_b32_e32 v1, 10, v0                               // 0000000040F0: 2002008A
	v_lshrrev_b32_e32 v2, 10, v1                               // 0000000040F4: 2004028A
	v_and_b32_e32 v2, 0x3ff, v2                                // 0000000040F8: 260404FF 000003FF
	v_and_b32_e32 v1, 0x3ff, v1                                // 000000004100: 260202FF 000003FF
	v_and_b32_e32 v0, 0x3ff, v0                                // 000000004108: 260000FF 000003FF
	v_lshrrev_b32_e32 v3, 6, v0                                // 000000004110: 20060086
	v_and_b32_e32 v0, 63, v0                                   // 000000004114: 260000BF
	s_mov_b32 s2, s2                                           // 000000004118: BE820002
	s_mov_b32 s3, s3                                           // 00000000411C: BE830003
	s_mov_b32 s4, s4                                           // 000000004120: BE840004
	v_readfirstlane_b32 s46, v3                                // 000000004124: 7E5C0503
	s_waitcnt lgkmcnt(0)                                       // 000000004128: BF8CC07F
	s_mul_i32 s60, s4, 4                                       // 00000000412C: 923C8404
	s_add_u32 s88, s60, s88                                    // 000000004130: 8058583C
	s_addc_u32 s89, 0, s89                                     // 000000004134: 82595980
	s_load_dwordx2 s[84:85], s[88:89], 0x0                     // 000000004138: C006152C 00000000
	s_add_u32 s96, s60, s96                                    // 000000004140: 8060603C
	s_addc_u32 s97, 0, s97                                     // 000000004144: 82616180
	s_load_dword s90, s[96:97], 0x0                            // 000000004148: C00216B0 00000000
	s_add_u32 s92, s60, s92                                    // 000000004150: 805C5C3C
	s_addc_u32 s93, 0, s93                                     // 000000004154: 825D5D80
	s_load_dwordx2 s[86:87], s[92:93], 0x0                     // 000000004158: C00615AE 00000000
	s_add_u32 s100, s60, s100                                  // 000000004160: 8064643C
	s_addc_u32 s101, 0, s101                                   // 000000004164: 82656580
	s_load_dword s94, s[100:101], 0x0                          // 000000004168: C00217B2 00000000
	s_mov_b32 s11, 0x20000                                     // 000000004170: BE8B00FF 00020000
	s_mov_b32 s15, 0x20000                                     // 000000004178: BE8F00FF 00020000
	s_mov_b32 s19, 0x20000                                     // 000000004180: BE9300FF 00020000
	s_mov_b32 s23, 0x20000                                     // 000000004188: BE9700FF 00020000
	s_mov_b32 s27, 0x20000                                     // 000000004190: BE9B00FF 00020000
	s_mov_b32 s31, 0x20000                                     // 000000004198: BE9F00FF 00020000
	s_mov_b32 s35, 0x20000                                     // 0000000041A0: BEA300FF 00020000
	s_mov_b32 s39, 0x20000                                     // 0000000041A8: BEA700FF 00020000
	s_mov_b32 s43, 0x20000                                     // 0000000041B0: BEAB00FF 00020000
	s_and_b32 s9, s9, 0xffff                                   // 0000000041B8: 8609FF09 0000FFFF
	s_and_b32 s13, s13, 0xffff                                 // 0000000041C0: 860DFF0D 0000FFFF
	s_and_b32 s17, s17, 0xffff                                 // 0000000041C8: 8611FF11 0000FFFF
	s_and_b32 s21, s21, 0xffff                                 // 0000000041D0: 8615FF15 0000FFFF
	s_and_b32 s25, s25, 0xffff                                 // 0000000041D8: 8619FF19 0000FFFF
	s_and_b32 s29, s29, 0xffff                                 // 0000000041E0: 861DFF1D 0000FFFF
	s_and_b32 s33, s33, 0xffff                                 // 0000000041E8: 8621FF21 0000FFFF
	s_and_b32 s37, s37, 0xffff                                 // 0000000041F0: 8625FF25 0000FFFF
	s_and_b32 s41, s41, 0xffff                                 // 0000000041F8: 8629FF29 0000FFFF
	s_or_b32 s9, s9, 0x40000                                   // 000000004200: 8709FF09 00040000
	s_or_b32 s13, s13, 0x40000                                 // 000000004208: 870DFF0D 00040000
	s_or_b32 s17, s17, 0x40000                                 // 000000004210: 8711FF11 00040000
	s_or_b32 s21, s21, 0x40000                                 // 000000004218: 8715FF15 00040000
	s_or_b32 s25, s25, 0x40000                                 // 000000004220: 8719FF19 00040000
	s_or_b32 s29, s29, 0x40000                                 // 000000004228: 871DFF1D 00040000
	s_or_b32 s33, s33, 0x40000                                 // 000000004230: 8721FF21 00040000
	s_or_b32 s37, s37, 0x40000                                 // 000000004238: 8725FF25 00040000
	s_or_b32 s41, s41, 0x40000                                 // 000000004240: 8729FF29 00040000
	v_accvgpr_write_b32 a159, 0                                // 000000004248: D3D9409F 18000080
	v_mov_b32_e32 v236, 0                                      // 000000004250: 7FD80280
	s_mov_b32 s71, s3                                          // 000000004254: BEC70003
	v_cvt_f32_u32_e32 v32, s44                                 // 000000004258: 7E400C2C
	s_sub_i32 s60, 0, s44                                      // 00000000425C: 81BC2C80
	v_rcp_iflag_f32_e32 v32, v32                               // 000000004260: 7E404720
	s_nop 0                                                    // 000000004264: BF800000
	v_mul_f32_e32 v32, 0x4f7ffffe, v32                         // 000000004268: 0A4040FF 4F7FFFFE
	v_cvt_u32_f32_e32 v32, v32                                 // 000000004270: 7E400F20
	v_mul_lo_u32 v33, s60, v32                                 // 000000004274: D2850021 0002403C
	v_mul_hi_u32 v33, v32, v33                                 // 00000000427C: D2860021 00024320
	v_add_u32_e32 v32, v32, v33                                // 000000004284: 68404320
	v_mul_hi_u32 v32, s71, v32                                 // 000000004288: D2860020 00024047
	v_mul_lo_u32 v33, v32, s44                                 // 000000004290: D2850021 00005920
	v_sub_u32_e32 v35, s71, v33                                // 000000004298: 6A464247
	v_add_u32_e32 v34, 1, v32                                  // 00000000429C: 68444081
	v_cmp_le_u32_e32 vcc, s44, v35                             // 0000000042A0: 7D96462C
	v_subrev_u32_e32 v33, s44, v35                             // 0000000042A4: 6C42462C
	s_nop 0                                                    // 0000000042A8: BF800000
	v_cndmask_b32_e32 v32, v32, v34, vcc                       // 0000000042AC: 00404520
	v_cndmask_b32_e32 v35, v35, v33, vcc                       // 0000000042B0: 00464323
	v_add_u32_e32 v33, 1, v32                                  // 0000000042B4: 68424081
	v_cmp_le_u32_e32 vcc, s44, v35                             // 0000000042B8: 7D96462C
	s_nop 1                                                    // 0000000042BC: BF800001
	v_cndmask_b32_e32 v35, v32, v33, vcc                       // 0000000042C0: 00464320
	s_nop 3                                                    // 0000000042C4: BF800003
	v_readfirstlane_b32 s45, v35                               // 0000000042C8: 7E5A0523
	s_nop 3                                                    // 0000000042CC: BF800003
	s_waitcnt lgkmcnt(0)                                       // 0000000042D0: BF8CC07F
	s_mul_i32 s61, s2, 0x180                                   // 0000000042D4: 923DFF02 00000180
	s_sub_i32 s87, s87, s86                                    // 0000000042DC: 81D75657
	s_mov_b32 s86, s94                                         // 0000000042E0: BED6005E
	s_sub_i32 s85, s85, s84                                    // 0000000042E4: 81D55455
	s_mov_b32 s84, s90                                         // 0000000042E8: BED4005A
	s_cmp_gt_i32 s85, 0                                        // 0000000042EC: BF028055
	s_cbranch_scc0 label_1F92                                  // 0000000042F0: BF841EB1
	s_mov_b32 s59, 0                                           // 0000000042F4: BEBB0080
	s_mov_b32 s58, s85                                         // 0000000042F8: BEBA0055
	s_cmp_ge_i32 s61, s87                                      // 0000000042FC: BF03573D
	s_cbranch_scc1 label_1F92                                  // 000000004300: BF851EAD
	s_mul_i32 s61, s45, s79                                    // 000000004304: 923D4F2D
	s_mov_b32 s54, s61                                         // 000000004308: BEB6003D
	s_add_u32 s12, s54, s12                                    // 00000000430C: 800C0C36
	s_addc_u32 s13, 0, s13                                     // 000000004310: 820D0D80
	s_mul_i32 s60, s86, s6                                     // 000000004314: 923C0656
	s_mul_hi_u32 s61, s86, s6                                  // 000000004318: 963D0656
	s_and_b32 s61, s61, 0xffff                                 // 00000000431C: 863DFF3D 0000FFFF
	s_add_u32 s12, s12, s60                                    // 000000004324: 800C3C0C
	s_addc_u32 s13, s13, s61                                   // 000000004328: 820D3D0D
	s_mul_i32 s61, s45, s80                                    // 00000000432C: 923D502D
	s_mov_b32 s54, s61                                         // 000000004330: BEB6003D
	s_add_u32 s16, s54, s16                                    // 000000004334: 80101036
	s_addc_u32 s17, 0, s17                                     // 000000004338: 82111180
	s_mul_i32 s60, s86, s7                                     // 00000000433C: 923C0756
	s_mul_hi_u32 s61, s86, s7                                  // 000000004340: 963D0756
	s_and_b32 s61, s61, 0xffff                                 // 000000004344: 863DFF3D 0000FFFF
	s_add_u32 s16, s16, s60                                    // 00000000434C: 80103C10
	s_addc_u32 s17, s17, s61                                   // 000000004350: 82113D11
	s_mul_i32 s61, s3, s78                                     // 000000004354: 923D4E03
	s_mov_b32 s55, s61                                         // 000000004358: BEB7003D
	s_add_u32 s8, s55, s8                                      // 00000000435C: 80080837
	s_addc_u32 s9, 0, s9                                       // 000000004360: 82090980
	s_mul_i32 s60, s84, s5                                     // 000000004364: 923C0554
	s_mul_hi_u32 s61, s84, s5                                  // 000000004368: 963D0554
	s_and_b32 s61, s61, 0xffff                                 // 00000000436C: 863DFF3D 0000FFFF
	s_add_u32 s8, s8, s60                                      // 000000004374: 80083C08
	s_addc_u32 s9, s9, s61                                     // 000000004378: 82093D09
	s_mul_i32 s61, s3, s81                                     // 00000000437C: 923D5103
	s_mov_b32 s56, s61                                         // 000000004380: BEB8003D
	s_add_u32 s20, s56, s20                                    // 000000004384: 80141438
	s_addc_u32 s21, 0, s21                                     // 000000004388: 82151580
	s_mul_i32 s60, s84, s51                                    // 00000000438C: 923C3354
	s_mul_hi_u32 s61, s84, s51                                 // 000000004390: 963D3354
	s_and_b32 s61, s61, 0xffff                                 // 000000004394: 863DFF3D 0000FFFF
	s_add_u32 s20, s20, s60                                    // 00000000439C: 80143C14
	s_addc_u32 s21, s21, s61                                   // 0000000043A0: 82153D15
	s_mul_i32 s62, 4, s84                                      // 0000000043A4: 923E5484
	s_mul_i32 s61, s3, s49                                     // 0000000043A8: 923D3103
	s_add_u32 s65, s61, s62                                    // 0000000043AC: 80413E3D
	s_mov_b32 s26, s85                                         // 0000000043B0: BE9A0055
	s_mov_b32 s30, s85                                         // 0000000043B4: BE9E0055
	s_add_u32 s24, s65, s24                                    // 0000000043B8: 80181841
	s_addc_u32 s25, 0, s25                                     // 0000000043BC: 82191980
	s_add_u32 s28, s65, s28                                    // 0000000043C0: 801C1C41
	s_addc_u32 s29, 0, s29                                     // 0000000043C4: 821D1D80
	s_mul_i32 s61, s3, s82                                     // 0000000043C8: 923D5203
	s_mul_i32 s62, s86, s52                                    // 0000000043CC: 923E3456
	s_add_u32 s60, s61, s62                                    // 0000000043D0: 803C3E3D
	s_mul_hi_u32 s61, s86, s52                                 // 0000000043D4: 963D3456
	s_and_b32 s61, s61, 0xffff                                 // 0000000043D8: 863DFF3D 0000FFFF
	s_add_u32 s36, s60, s36                                    // 0000000043E0: 8024243C
	s_addc_u32 s37, s61, s37                                   // 0000000043E4: 8225253D
	s_mul_i32 s60, s87, s52                                    // 0000000043E8: 923C3457
	s_lshr_b32 s60, s60, 2                                     // 0000000043EC: 8F3C823C
	s_mov_b32 s38, s60                                         // 0000000043F0: BEA6003C
	s_mul_i32 s61, s3, s83                                     // 0000000043F4: 923D5303
	s_mul_i32 s62, s86, s53                                    // 0000000043F8: 923E3556
	s_add_u32 s60, s61, s62                                    // 0000000043FC: 803C3E3D
	s_mul_hi_u32 s61, s86, s53                                 // 000000004400: 963D3556
	s_and_b32 s61, s61, 0xffff                                 // 000000004404: 863DFF3D 0000FFFF
	s_add_u32 s40, s60, s40                                    // 00000000440C: 8028283C
	s_addc_u32 s41, s61, s41                                   // 000000004410: 8229293D
	s_mul_i32 s60, s87, s53                                    // 000000004414: 923C3557
	s_lshr_b32 s60, s60, 2                                     // 000000004418: 8F3C823C
	s_mov_b32 s42, s60                                         // 00000000441C: BEAA003C
	s_mul_i32 s60, 64, s65                                     // 000000004420: 923C41C0
	s_mul_hi_u32 s61, 64, s65                                  // 000000004424: 963D41C0
	s_and_b32 s61, s61, 0xffff                                 // 000000004428: 863DFF3D 0000FFFF
	s_add_u32 s32, s60, s32                                    // 000000004430: 8020203C
	s_addc_u32 s33, s61, s33                                   // 000000004434: 8221213D
	s_mul_i32 s60, 64, s85                                     // 000000004438: 923C55C0
	s_mov_b32 s34, s60                                         // 00000000443C: BEA2003C
	s_mov_b32 s90, s8                                          // 000000004440: BEDA0008
	s_mov_b32 s94, s12                                         // 000000004444: BEDE000C
	s_mov_b32 s96, s16                                         // 000000004448: BEE00010
	s_mov_b32 s98, s20                                         // 00000000444C: BEE20014
	s_mov_b32 s91, s9                                          // 000000004450: BEDB0009
	s_mov_b32 s95, s13                                         // 000000004454: BEDF000D
	s_mov_b32 s97, s17                                         // 000000004458: BEE10011
	s_mov_b32 s99, s21                                         // 00000000445C: BEE30015
	s_add_u32 s71, 0xbf, s87                                   // 000000004460: 804757FF 000000BF
	s_mov_b32 s74, 0xc0                                        // 000000004468: BECA00FF 000000C0
	v_cvt_f32_u32_e32 v32, s74                                 // 000000004470: 7E400C4A
	s_sub_i32 s60, 0, s74                                      // 000000004474: 81BC4A80
	v_rcp_iflag_f32_e32 v32, v32                               // 000000004478: 7E404720
	s_nop 0                                                    // 00000000447C: BF800000
	v_mul_f32_e32 v32, 0x4f7ffffe, v32                         // 000000004480: 0A4040FF 4F7FFFFE
	v_cvt_u32_f32_e32 v32, v32                                 // 000000004488: 7E400F20
	v_mul_lo_u32 v33, s60, v32                                 // 00000000448C: D2850021 0002403C
	v_mul_hi_u32 v33, v32, v33                                 // 000000004494: D2860021 00024320
	v_add_u32_e32 v32, v32, v33                                // 00000000449C: 68404320
	v_mul_hi_u32 v32, s71, v32                                 // 0000000044A0: D2860020 00024047
	v_mul_lo_u32 v33, v32, s74                                 // 0000000044A8: D2850021 00009520
	v_sub_u32_e32 v35, s71, v33                                // 0000000044B0: 6A464247
	v_add_u32_e32 v34, 1, v32                                  // 0000000044B4: 68444081
	v_cmp_le_u32_e32 vcc, s74, v35                             // 0000000044B8: 7D96464A
	v_subrev_u32_e32 v33, s74, v35                             // 0000000044BC: 6C42464A
	s_nop 0                                                    // 0000000044C0: BF800000
	v_cndmask_b32_e32 v32, v32, v34, vcc                       // 0000000044C4: 00404520
	v_cndmask_b32_e32 v35, v35, v33, vcc                       // 0000000044C8: 00464323
	v_add_u32_e32 v33, 1, v32                                  // 0000000044CC: 68424081
	v_cmp_le_u32_e32 vcc, s74, v35                             // 0000000044D0: 7D96464A
	s_nop 1                                                    // 0000000044D4: BF800001
	v_cndmask_b32_e32 v35, v32, v33, vcc                       // 0000000044D8: 00464320
	s_nop 3                                                    // 0000000044DC: BF800003
	v_readfirstlane_b32 s77, v35                               // 0000000044E0: 7E9A0523
	s_nop 3                                                    // 0000000044E4: BF800003
	v_mov_b32_e32 v32, s47                                     // 0000000044E8: 7E40022F
	v_mul_f32_e32 v32, s48, v32                                // 0000000044EC: 0A404030
	v_mov_b32_e32 v229, 0xffff0000                             // 0000000044F0: 7FCA02FF FFFF0000
	v_mov_b32_e32 v230, 0x7fff0000                             // 0000000044F8: 7FCC02FF 7FFF0000
	v_mov_b32_e32 v231, 0x7fff                                 // 000000004500: 7FCE02FF 00007FFF
	s_mov_b32 s63, 0x5040100                                   // 000000004508: BEBF00FF 05040100
	s_mov_b32 s64, 0x7060302                                   // 000000004510: BEC000FF 07060302
	v_readfirstlane_b32 s57, v32                               // 000000004518: 7E720520
	v_mov_b32_e32 v34, 0x3020706                               // 00000000451C: 7E4402FF 03020706
	v_mov_b32_e32 v32, s63                                     // 000000004524: 7E40023F
	v_and_b32_e32 v33, 1, v0                                   // 000000004528: 26420081
	v_cmp_eq_u32_e32 vcc, 1, v33                               // 00000000452C: 7D944281
	s_mov_b32 s67, 0x800                                       // 000000004530: BEC300FF 00000800
	v_cndmask_b32_e32 v17, v32, v34, vcc                       // 000000004538: 00224520
	s_cmp_lt_u32 s46, 2                                        // 00000000453C: BF0A822E
	s_cselect_b32 s24, s24, s28                                // 000000004540: 85181C18
	s_cselect_b32 s25, s25, s29                                // 000000004544: 85191D19
	s_cselect_b32 s26, s26, s30                                // 000000004548: 851A1E1A
	s_cselect_b32 s27, s27, s31                                // 00000000454C: 851B1F1B
	s_lshr_b32 s60, s46, 1                                     // 000000004550: 8F3C812E
	s_lshl_b32 s60, s60, 8                                     // 000000004554: 8E3C883C
	s_add_u32 s80, 0x9a00, s60                                 // 000000004558: 80503CFF 00009A00
	s_add_u32 s81, 0x200, s80                                  // 000000004560: 805150FF 00000200
	s_mov_b32 m0, s80                                          // 000000004568: BEFC0050
	s_mov_b32 s75, 0                                           // 00000000456C: BECB0080
	s_mov_b32 s76, 1                                           // 000000004570: BECC0081
	s_lshl_b32 s60, s2, 1                                      // 000000004574: 8E3C8102
	s_add_u32 s60, 1, s60                                      // 000000004578: 803C3C81
	s_cmp_ge_i32 s60, s77                                      // 00000000457C: BF034D3C
	s_cselect_b32 s76, s76, 2                                  // 000000004580: 854C824C

0000000000004584 <label_0161>:
	s_mov_b32 m0, s80                                          // 000000004584: BEFC0050
	s_mov_b32 s66, 0                                           // 000000004588: BEC20080
	v_mov_b32_e32 v178, 0xff800000                             // 00000000458C: 7F6402FF FF800000
	s_mov_b32 s74, 0                                           // 000000004594: BECA0080
	s_mul_i32 s68, 8, s5                                       // 000000004598: 92440588
	s_mul_i32 s100, 8, s51                                     // 00000000459C: 92643388
	s_mov_b32 s69, 32                                          // 0000000045A0: BEC500A0
	s_mul_i32 s83, 0xc0, s2                                    // 0000000045A4: 925302FF 000000C0
	s_sub_i32 s60, s87, s85                                    // 0000000045AC: 81BC5557
	s_sub_i32 s71, s83, s60                                    // 0000000045B0: 81C73C53
	s_cmp_ge_i32 s71, 0                                        // 0000000045B4: BF038047
	s_cselect_b32 s59, s71, 0                                  // 0000000045B8: 853B8047
	s_add_i32 s60, s71, 0xc0                                   // 0000000045BC: 813CFF47 000000C0
	s_cmp_le_i32 s60, 0                                        // 0000000045C4: BF05803C
	s_cbranch_scc0 label_0175                                  // 0000000045C8: BF840002
	s_mov_b32 s82, 0                                           // 0000000045CC: BED20080
	s_branch label_0181                                        // 0000000045D0: BF82000C

00000000000045d4 <label_0175>:
	s_mov_b32 s82, 1                                           // 0000000045D4: BED20081
	s_sub_i32 s60, s59, s71                                    // 0000000045D8: 81BC473B
	v_lshrrev_b32_e32 v32, 4, v0                               // 0000000045DC: 20400084
	v_mul_i32_i24_e32 v32, 4, v32                              // 0000000045E0: 0C404084
	v_add_i32 v32, v32, s60                                    // 0000000045E4: D29C0020 00007920
	v_and_b32_e32 v33, 15, v0                                  // 0000000045EC: 2642008F
	v_mul_i32_i24_e64 v34, s46, 16                             // 0000000045F0: D1060022 0001202E
	v_add_u32_e32 v33, v33, v34                                // 0000000045F8: 68424521
	v_sub_i32 v236, v33, v32                                   // 0000000045FC: D29D00EC 00024121

0000000000004604 <label_0181>:
	s_mul_i32 s54, s6, s83                                     // 000000004604: 92365306
	s_sub_i32 s61, s87, s83                                    // 000000004608: 81BD5357
	s_mul_i32 s62, s6, s61                                     // 00000000460C: 923E3D06
	s_lshr_b32 s62, s62, 2                                     // 000000004610: 8F3E823E
	s_mov_b32 s14, s62                                         // 000000004614: BE8E003E
	s_add_u32 s12, s54, s94                                    // 000000004618: 800C5E36
	s_addc_u32 s13, 0, s95                                     // 00000000461C: 820D5F80
	s_mul_i32 s54, s7, s83                                     // 000000004620: 92365307
	s_mul_i32 s62, s7, s61                                     // 000000004624: 923E3D07
	s_lshr_b32 s62, s62, 2                                     // 000000004628: 8F3E823E
	s_mov_b32 s18, s62                                         // 00000000462C: BE92003E
	s_add_u32 s16, s54, s96                                    // 000000004630: 80106036
	s_addc_u32 s17, 0, s97                                     // 000000004634: 82116180
	s_mov_b32 s71, s6                                          // 000000004638: BEC70006
	v_lshrrev_b32_e32 v32, 4, v0                               // 00000000463C: 20400084
	v_and_b32_e32 v33, 1, v32                                  // 000000004640: 26424081
	v_lshlrev_b32_e32 v33, 1, v33                              // 000000004644: 24424281
	v_mul_i32_i24_e32 v33, s71, v33                            // 000000004648: 0C424247
	v_and_b32_e32 v34, 2, v32                                  // 00000000464C: 26444082
	v_lshlrev_b32_e32 v34, 5, v34                              // 000000004650: 24444485
	v_add_u32_e32 v33, v34, v33                                // 000000004654: 68424322
	v_and_b32_e32 v32, 15, v0                                  // 000000004658: 2640008F
	v_lshlrev_b32_e32 v32, 2, v32                              // 00000000465C: 24404082
	v_add_u32_e32 v1, v32, v33                                 // 000000004660: 68024320
	s_mul_i32 s60, s46, s71                                    // 000000004664: 923C472E
	s_mul_i32 s60, s60, 4                                      // 000000004668: 923C843C
	v_add_u32_e32 v1, s60, v1                                  // 00000000466C: 6802023C
	v_add_u32_e32 v2, s71, v1                                  // 000000004670: 68040247
	s_mul_i32 s60, 16, s71                                     // 000000004674: 923C4790
	v_add_u32_e32 v3, s60, v1                                  // 000000004678: 6806023C
	v_add_u32_e32 v4, s60, v2                                  // 00000000467C: 6808043C
	s_mov_b32 s71, s7                                          // 000000004680: BEC70007
	v_lshrrev_b32_e32 v32, 4, v0                               // 000000004684: 20400084
	v_and_b32_e32 v33, 1, v32                                  // 000000004688: 26424081
	v_lshlrev_b32_e32 v33, 1, v33                              // 00000000468C: 24424281
	v_mul_i32_i24_e32 v33, s71, v33                            // 000000004690: 0C424247
	v_and_b32_e32 v34, 2, v32                                  // 000000004694: 26444082
	v_lshlrev_b32_e32 v34, 5, v34                              // 000000004698: 24444485
	v_add_u32_e32 v33, v34, v33                                // 00000000469C: 68424322
	v_and_b32_e32 v32, 15, v0                                  // 0000000046A0: 2640008F
	v_lshlrev_b32_e32 v32, 2, v32                              // 0000000046A4: 24404082
	v_add_u32_e32 v232, v32, v33                               // 0000000046A8: 69D04320
	s_mul_i32 s60, s46, s71                                    // 0000000046AC: 923C472E
	s_mul_i32 s60, s60, 4                                      // 0000000046B0: 923C843C
	v_add_u32_e32 v232, s60, v232                              // 0000000046B4: 69D1D03C
	v_add_u32_e32 v233, s71, v232                              // 0000000046B8: 69D3D047
	s_mul_i32 s60, 16, s71                                     // 0000000046BC: 923C4790
	v_add_u32_e32 v234, s60, v232                              // 0000000046C0: 69D5D03C
	v_add_u32_e32 v235, s60, v233                              // 0000000046C4: 69D7D23C
	v_lshrrev_b32_e32 v1, 2, v1                                // 0000000046C8: 20020282
	v_lshrrev_b32_e32 v2, 2, v2                                // 0000000046CC: 20040482
	v_lshrrev_b32_e32 v232, 2, v232                            // 0000000046D0: 21D1D082
	v_lshrrev_b32_e32 v233, 2, v233                            // 0000000046D4: 21D3D282
	s_mov_b32 s70, s52                                         // 0000000046D8: BEC60034
	v_lshrrev_b32_e32 v32, 3, v0                               // 0000000046DC: 20400083
	v_mul_i32_i24_e32 v5, s70, v32                             // 0000000046E0: 0C0A4046
	v_lshrrev_b32_e32 v5, 2, v5                                // 0000000046E4: 200A0A82
	v_and_b32_e32 v32, 7, v0                                   // 0000000046E8: 26400087
	v_lshlrev_b32_e32 v33, 2, v32                              // 0000000046EC: 24424082
	v_add_u32_e32 v5, v33, v5                                  // 0000000046F0: 680A0B21
	s_mul_i32 s60, 16, s70                                     // 0000000046F4: 923C4690
	s_mul_i32 s60, s46, s60                                    // 0000000046F8: 923C3C2E
	v_lshlrev_b32_e32 v5, 2, v5                                // 0000000046FC: 240A0A82
	v_add_u32_e32 v5, s60, v5                                  // 000000004700: 680A0A3C
	s_mul_i32 s60, s52, s83                                    // 000000004704: 923C5334
	v_add_u32_e32 v5, s60, v5                                  // 000000004708: 680A0A3C
	v_lshrrev_b32_e32 v5, 2, v5                                // 00000000470C: 200A0A82
	s_mov_b32 s70, s53                                         // 000000004710: BEC60035
	v_lshrrev_b32_e32 v32, 3, v0                               // 000000004714: 20400083
	v_mul_i32_i24_e32 v10, s70, v32                            // 000000004718: 0C144046
	v_lshrrev_b32_e32 v10, 2, v10                              // 00000000471C: 20141482
	v_and_b32_e32 v32, 7, v0                                   // 000000004720: 26400087
	v_lshlrev_b32_e32 v33, 2, v32                              // 000000004724: 24424082
	v_add_u32_e32 v10, v33, v10                                // 000000004728: 68141521
	s_mul_i32 s60, 16, s70                                     // 00000000472C: 923C4690
	s_mul_i32 s60, s46, s60                                    // 000000004730: 923C3C2E
	v_lshlrev_b32_e32 v10, 2, v10                              // 000000004734: 24141482
	v_add_u32_e32 v10, s60, v10                                // 000000004738: 6814143C
	s_mul_i32 s60, s53, s83                                    // 00000000473C: 923C5335
	v_add_u32_e32 v10, s60, v10                                // 000000004740: 6814143C
	v_lshrrev_b32_e32 v10, 2, v10                              // 000000004744: 20141482
	s_cmp_ge_i32 s59, s85                                      // 000000004748: BF03553B
	s_cselect_b32 s59, s85, s59                                // 00000000474C: 853B3B55
	s_add_u32 s73, 32, s59                                     // 000000004750: 80493BA0
	s_mul_i32 s55, s5, s59                                     // 000000004754: 92373B05
	s_sub_i32 s61, s85, s59                                    // 000000004758: 81BD3B55
	s_mul_i32 s62, s5, s61                                     // 00000000475C: 923E3D05
	s_lshr_b32 s62, s62, 2                                     // 000000004760: 8F3E823E
	s_mov_b32 s10, s62                                         // 000000004764: BE8A003E
	s_add_u32 s8, s55, s90                                     // 000000004768: 80085A37
	s_addc_u32 s9, 0, s91                                      // 00000000476C: 82095B80
	s_mul_i32 s56, s51, s59                                    // 000000004770: 92383B33
	s_mul_i32 s62, s51, s61                                    // 000000004774: 923E3D33
	s_lshr_b32 s62, s62, 2                                     // 000000004778: 8F3E823E
	s_mov_b32 s22, s62                                         // 00000000477C: BE96003E
	s_add_u32 s20, s56, s98                                    // 000000004780: 80146238
	s_addc_u32 s21, 0, s99                                     // 000000004784: 82156380
	s_mul_i32 s65, s59, 4                                      // 000000004788: 9241843B
	v_and_b32_e32 v11, 31, v0                                  // 00000000478C: 2616009F
	v_lshlrev_b32_e32 v11, 2, v11                              // 000000004790: 24161682
	v_add_u32_e32 v11, s65, v11                                // 000000004794: 68161641
	v_lshrrev_b32_e32 v11, 2, v11                              // 000000004798: 20161682
	v_lshrrev_b32_e32 v32, 5, v0                               // 00000000479C: 20400085
	v_mul_i32_i24_e32 v6, 0x80, v32                            // 0000000047A0: 0C0C40FF 00000080
	v_and_b32_e32 v32, 31, v0                                  // 0000000047A8: 2640009F
	v_add_u32_e32 v6, v32, v6                                  // 0000000047AC: 680C0D20
	s_mul_i32 s60, s46, 0x100                                  // 0000000047B0: 923CFF2E 00000100
	v_add_u32_e32 v6, s60, v6                                  // 0000000047B8: 680C0C3C
	v_lshlrev_b32_e32 v6, 2, v6                                // 0000000047BC: 240C0C82
	v_add_u32_e32 v7, 0x100, v6                                // 0000000047C0: 680E0CFF 00000100
	v_add_u32_e32 v8, 0x1000, v6                               // 0000000047C8: 68100CFF 00001000
	v_add_u32_e32 v9, 0x1000, v7                               // 0000000047D0: 68120EFF 00001000
	s_mul_i32 s60, 64, s65                                     // 0000000047D8: 923C41C0
	v_add_u32_e32 v6, s60, v6                                  // 0000000047DC: 680C0C3C
	v_lshrrev_b32_e32 v6, 2, v6                                // 0000000047E0: 200C0C82
	v_add_u32_e32 v7, s60, v7                                  // 0000000047E4: 680E0E3C
	v_lshrrev_b32_e32 v7, 2, v7                                // 0000000047E8: 200E0E82
	v_add_u32_e32 v8, s60, v8                                  // 0000000047EC: 6810103C
	v_lshrrev_b32_e32 v8, 2, v8                                // 0000000047F0: 20101082
	v_add_u32_e32 v9, s60, v9                                  // 0000000047F4: 6812123C
	v_lshrrev_b32_e32 v9, 2, v9                                // 0000000047F8: 20121282
	s_mul_i32 s60, 3, s2                                       // 0000000047FC: 923C0283
	s_add_u32 s61, s87, 63                                     // 000000004800: 803DBF57
	s_lshr_b32 s61, s61, 6                                     // 000000004804: 8F3D863D
	s_sub_i32 s72, s61, s60                                    // 000000004808: 81C83C3D
	s_cmp_lt_i32 s72, 3                                        // 00000000480C: BF048348
	s_cselect_b32 s72, s72, 3                                  // 000000004810: 85488348
	s_mul_i32 s60, 0xc0, s2                                    // 000000004814: 923C02FF 000000C0
	s_sub_i32 s84, s87, s60                                    // 00000000481C: 81D43C57
	v_and_b32_e32 v32, 31, v0                                  // 000000004820: 2640009F
	v_lshrrev_b32_e32 v32, 1, v32                              // 000000004824: 20404081
	v_and_b32_e32 v33, 1, v32                                  // 000000004828: 26424081
	v_lshlrev_b32_e32 v33, 4, v33                              // 00000000482C: 24424284
	v_and_b32_e32 v34, 2, v32                                  // 000000004830: 26444082
	v_lshlrev_b32_e32 v34, 2, v34                              // 000000004834: 24444482
	v_add_u32_e32 v33, v34, v33                                // 000000004838: 68424322
	v_and_b32_e32 v34, 12, v32                                 // 00000000483C: 2644408C
	v_lshrrev_b32_e32 v34, 1, v34                              // 000000004840: 20444481
	v_add_u32_e32 v33, v34, v33                                // 000000004844: 68424322
	v_lshrrev_b32_e32 v32, 5, v0                               // 000000004848: 20400085
	v_mul_i32_i24_e32 v34, 0x80, v32                           // 00000000484C: 0C4440FF 00000080
	v_add_u32_e32 v33, v34, v33                                // 000000004854: 68424322
	v_and_b32_e32 v34, 1, v0                                   // 000000004858: 26440081
	v_add_u32_e32 v13, v34, v33                                // 00000000485C: 681A4322
	s_mul_i32 s60, s46, 32                                     // 000000004860: 923CA02E
	v_add_u32_e32 v13, s60, v13                                // 000000004864: 681A1A3C
	v_lshlrev_b32_e32 v13, 2, v13                              // 000000004868: 241A1A82
	v_lshrrev_b32_e32 v32, 4, v0                               // 00000000486C: 20400084
	v_and_b32_e32 v33, 1, v32                                  // 000000004870: 26424081
	v_lshlrev_b32_e32 v33, 4, v33                              // 000000004874: 24424284
	v_and_b32_e32 v34, 2, v32                                  // 000000004878: 26444082
	v_mul_i32_i24_e32 v34, 4, v34                              // 00000000487C: 0C444484
	v_add_u32_e32 v33, v34, v33                                // 000000004880: 68424322
	v_and_b32_e32 v32, 15, v0                                  // 000000004884: 2640008F
	v_lshrrev_b32_e32 v34, 2, v32                              // 000000004888: 20444082
	v_lshlrev_b32_e32 v34, 5, v34                              // 00000000488C: 24444485
	v_add_u32_e32 v33, v34, v33                                // 000000004890: 68424322
	v_and_b32_e32 v32, 3, v0                                   // 000000004894: 26400083
	v_and_b32_e32 v34, 1, v32                                  // 000000004898: 26444081
	v_mul_i32_i24_e32 v34, 0x108, v34                          // 00000000489C: 0C4444FF 00000108
	v_add_u32_e32 v33, v34, v33                                // 0000000048A4: 68424322
	v_and_b32_e32 v34, 2, v32                                  // 0000000048A8: 26444082
	v_lshlrev_b32_e32 v34, 1, v34                              // 0000000048AC: 24444481
	v_add_u32_e32 v12, v34, v33                                // 0000000048B0: 68184322
	v_lshlrev_b32_e32 v12, 2, v12                              // 0000000048B4: 24181882
	s_mul_i32 s60, s46, 0x880                                  // 0000000048B8: 923CFF2E 00000880
	v_add_u32_e32 v24, s60, v12                                // 0000000048C0: 6830183C
	v_lshrrev_b32_e32 v32, 5, v0                               // 0000000048C4: 20400085
	v_mul_i32_i24_e32 v15, 0x80, v32                           // 0000000048C8: 0C1E40FF 00000080
	v_and_b32_e32 v32, 31, v0                                  // 0000000048D0: 2640009F
	v_and_b32_e32 v33, 7, v32                                  // 0000000048D4: 26424087
	v_and_b32_e32 v34, 1, v33                                  // 0000000048D8: 26444281
	v_lshlrev_b32_e32 v34, 2, v34                              // 0000000048DC: 24444482
	v_add_u32_e32 v15, v34, v15                                // 0000000048E0: 681E1F22
	v_and_b32_e32 v34, 2, v33                                  // 0000000048E4: 26444282
	v_lshlrev_b32_e32 v34, 3, v34                              // 0000000048E8: 24444483
	v_add_u32_e32 v15, v34, v15                                // 0000000048EC: 681E1F22
	v_and_b32_e32 v34, 4, v33                                  // 0000000048F0: 26444284
	v_lshlrev_b32_e32 v34, 1, v34                              // 0000000048F4: 24444481
	v_add_u32_e32 v15, v34, v15                                // 0000000048F8: 681E1F22
	v_lshrrev_b32_e32 v33, 3, v32                              // 0000000048FC: 20424083
	v_and_b32_e32 v34, 1, v33                                  // 000000004900: 26444281
	v_lshlrev_b32_e32 v34, 1, v34                              // 000000004904: 24444481
	v_add_u32_e32 v15, v34, v15                                // 000000004908: 681E1F22
	v_and_b32_e32 v34, 2, v33                                  // 00000000490C: 26444282
	v_lshrrev_b32_e32 v34, 1, v34                              // 000000004910: 20444481
	v_add_u32_e32 v15, v34, v15                                // 000000004914: 681E1F22
	s_mul_i32 s60, s46, 32                                     // 000000004918: 923CA02E
	v_add_u32_e32 v15, s60, v15                                // 00000000491C: 681E1E3C
	v_lshlrev_b32_e32 v15, 2, v15                              // 000000004920: 241E1E82
	v_and_b32_e32 v32, 15, v0                                  // 000000004924: 2640008F
	v_and_b32_e32 v34, 1, v32                                  // 000000004928: 26444081
	v_mul_i32_i24_e32 v14, 0x108, v34                          // 00000000492C: 0C1C44FF 00000108
	v_and_b32_e32 v34, 2, v32                                  // 000000004934: 26444082
	v_lshlrev_b32_e32 v34, 1, v34                              // 000000004938: 24444481
	v_add_u32_e32 v14, v34, v14                                // 00000000493C: 681C1D22
	v_and_b32_e32 v34, 4, v32                                  // 000000004940: 26444084
	v_lshlrev_b32_e32 v34, 2, v34                              // 000000004944: 24444482
	v_add_u32_e32 v14, v34, v14                                // 000000004948: 681C1D22
	v_and_b32_e32 v34, 8, v32                                  // 00000000494C: 26444088
	v_add_u32_e32 v14, v34, v14                                // 000000004950: 681C1D22
	v_lshrrev_b32_e32 v32, 4, v0                               // 000000004954: 20400084
	v_and_b32_e32 v34, 1, v32                                  // 000000004958: 26444081
	v_lshlrev_b32_e32 v34, 5, v34                              // 00000000495C: 24444485
	v_add_u32_e32 v14, v34, v14                                // 000000004960: 681C1D22
	v_and_b32_e32 v33, 2, v32                                  // 000000004964: 26424082
	v_mul_i32_i24_e32 v34, 32, v33                             // 000000004968: 0C4442A0
	v_mul_i32_i24_e32 v33, 0x110, v33                          // 00000000496C: 0C4242FF 00000110
	v_add_u32_e32 v25, v33, v14                                // 000000004974: 68321D21
	v_add_u32_e32 v14, v34, v14                                // 000000004978: 681C1D22
	v_lshlrev_b32_e32 v14, 2, v14                              // 00000000497C: 241C1C82
	v_lshlrev_b32_e32 v25, 2, v25                              // 000000004980: 24323282
	s_and_b32 s60, 1, s46                                      // 000000004984: 863C2E81
	s_mul_i32 s60, s60, 0x200                                  // 000000004988: 923CFF3C 00000200
	v_add_u32_e32 v25, s60, v25                                // 000000004990: 6832323C
	v_lshrrev_b32_e32 v32, 4, v0                               // 000000004994: 20400084
	v_mul_i32_i24_e32 v23, 4, v32                              // 000000004998: 0C2E4084
	v_and_b32_e32 v33, 3, v0                                   // 00000000499C: 26420083
	v_add_u32_e32 v23, v33, v23                                // 0000000049A0: 682E2F21
	v_lshlrev_b32_e32 v23, 2, v23                              // 0000000049A4: 242E2E82
	v_lshrrev_b32_e32 v32, 4, v0                               // 0000000049A8: 20400084
	v_and_b32_e32 v33, 1, v32                                  // 0000000049AC: 26424081
	v_mul_i32_i24_e32 v21, 0x100, v33                          // 0000000049B0: 0C2A42FF 00000100
	v_and_b32_e32 v33, 2, v32                                  // 0000000049B8: 26424082
	v_mul_i32_i24_e32 v33, 64, v33                             // 0000000049BC: 0C4242C0
	v_add_u32_e32 v21, v33, v21                                // 0000000049C0: 682A2B21
	v_and_b32_e32 v32, 15, v0                                  // 0000000049C4: 2640008F
	v_mul_i32_i24_e32 v33, 2, v32                              // 0000000049C8: 0C424082
	v_add_u32_e32 v21, v33, v21                                // 0000000049CC: 682A2B21
	s_mul_i32 s60, s46, 32                                     // 0000000049D0: 923CA02E
	v_add_u32_e32 v21, s60, v21                                // 0000000049D4: 682A2A3C
	v_lshlrev_b32_e32 v21, 2, v21                              // 0000000049D8: 242A2A82
	v_lshlrev_b32_e32 v22, 1, v0                               // 0000000049DC: 242C0081
	s_mul_i32 s60, s46, 0x200                                  // 0000000049E0: 923CFF2E 00000200
	v_add_u32_e32 v22, s60, v22                                // 0000000049E8: 682C2C3C
	v_lshlrev_b32_e32 v22, 2, v22                              // 0000000049EC: 242C2C82
	v_lshrrev_b32_e32 v32, 5, v0                               // 0000000049F0: 20400085
	v_mul_i32_i24_e32 v19, 64, v32                             // 0000000049F4: 0C2640C0
	v_and_b32_e32 v32, 31, v0                                  // 0000000049F8: 2640009F
	v_and_b32_e32 v32, 3, v32                                  // 0000000049FC: 26404083
	v_and_b32_e32 v33, 1, v32                                  // 000000004A00: 26424081
	v_mul_i32_i24_e32 v33, 4, v33                              // 000000004A04: 0C424284
	v_add_u32_e32 v19, v33, v19                                // 000000004A08: 68262721
	v_and_b32_e32 v33, 2, v32                                  // 000000004A0C: 26424082
	v_mul_i32_i24_e32 v33, 0x44, v33                           // 000000004A10: 0C4242FF 00000044
	v_add_u32_e32 v19, v33, v19                                // 000000004A18: 68262721
	v_and_b32_e32 v32, 31, v0                                  // 000000004A1C: 2640009F
	v_lshrrev_b32_e32 v32, 2, v32                              // 000000004A20: 20404082
	v_lshrrev_b32_e32 v34, 2, v32                              // 000000004A24: 20444082
	v_mul_i32_i24_e32 v33, 16, v34                             // 000000004A28: 0C424490
	v_add_u32_e32 v19, v33, v19                                // 000000004A2C: 68262721
	v_and_b32_e32 v33, 2, v32                                  // 000000004A30: 26424082
	v_lshlrev_b32_e32 v33, 4, v33                              // 000000004A34: 24424284
	v_add_u32_e32 v19, v33, v19                                // 000000004A38: 68262721
	v_and_b32_e32 v33, 1, v32                                  // 000000004A3C: 26424081
	v_xor_b32_e32 v33, v34, v33                                // 000000004A40: 2A424322
	v_mul_i32_i24_e32 v33, 8, v33                              // 000000004A44: 0C424288
	v_add_u32_e32 v19, v33, v19                                // 000000004A48: 68262721
	s_lshr_b32 s60, s46, 1                                     // 000000004A4C: 8F3C812E
	s_mul_i32 s60, s60, 0x6c0                                  // 000000004A50: 923CFF3C 000006C0
	v_add_u32_e32 v19, s60, v19                                // 000000004A58: 6826263C
	v_lshlrev_b32_e32 v19, 2, v19                              // 000000004A5C: 24262682
	v_lshrrev_b32_e32 v32, 5, v0                               // 000000004A60: 20400085
	v_mul_i32_i24_e32 v20, 32, v32                             // 000000004A64: 0C2840A0
	v_and_b32_e32 v32, 31, v0                                  // 000000004A68: 2640009F
	v_and_b32_e32 v32, 3, v32                                  // 000000004A6C: 26404083
	v_and_b32_e32 v33, 1, v32                                  // 000000004A70: 26424081
	v_mul_i32_i24_e32 v33, 4, v33                              // 000000004A74: 0C424284
	v_add_u32_e32 v20, v33, v20                                // 000000004A78: 68282921
	v_and_b32_e32 v33, 2, v32                                  // 000000004A7C: 26424082
	v_lshrrev_b32_e32 v33, 1, v33                              // 000000004A80: 20424281
	v_add_u32_e32 v20, v33, v20                                // 000000004A84: 68282921
	v_and_b32_e32 v32, 31, v0                                  // 000000004A88: 2640009F
	v_lshrrev_b32_e32 v32, 2, v32                              // 000000004A8C: 20404082
	v_and_b32_e32 v34, 1, v32                                  // 000000004A90: 26444081
	v_mul_i32_i24_e32 v33, 16, v34                             // 000000004A94: 0C424490
	v_add_u32_e32 v20, v33, v20                                // 000000004A98: 68282921
	v_and_b32_e32 v33, 2, v32                                  // 000000004A9C: 26424082
	v_add_u32_e32 v20, v33, v20                                // 000000004AA0: 68282921
	v_lshrrev_b32_e32 v33, 2, v32                              // 000000004AA4: 20424082
	v_xor_b32_e32 v33, v34, v33                                // 000000004AA8: 2A424322
	v_mul_i32_i24_e32 v33, 8, v33                              // 000000004AAC: 0C424288
	v_add_u32_e32 v20, v33, v20                                // 000000004AB0: 68282921
	s_and_b32 s60, 1, s46                                      // 000000004AB4: 863C2E81
	s_mul_i32 s60, s60, 64                                     // 000000004AB8: 923CC03C
	s_lshr_b32 s61, s46, 1                                     // 000000004ABC: 8F3D812E
	s_mul_i32 s61, s61, 0x120                                  // 000000004AC0: 923DFF3D 00000120
	s_add_u32 s60, s60, s61                                    // 000000004AC8: 803C3D3C
	v_add_u32_e32 v20, s60, v20                                // 000000004ACC: 6828283C
	v_lshlrev_b32_e32 v20, 2, v20                              // 000000004AD0: 24282882
	buffer_load_dword v180, v1, s[12:15], 0 idxen              // 000000004AD4: E0502000 8003B401
	buffer_load_dword v181, v2, s[12:15], 0 idxen              // 000000004ADC: E0502000 8003B502
	s_mul_i32 s60, 4, s6                                       // 000000004AE4: 923C0684
	s_cmp_lt_i32 0, s72                                        // 000000004AE8: BF044880
	s_cselect_b32 s60, s60, 0                                  // 000000004AEC: 853C803C
	v_add_u32_e32 v1, s60, v1                                  // 000000004AF0: 6802023C
	v_add_u32_e32 v2, s60, v2                                  // 000000004AF4: 6804043C
	buffer_load_dword v182, v1, s[12:15], 0 idxen              // 000000004AF8: E0502000 8003B601
	buffer_load_dword v183, v2, s[12:15], 0 idxen              // 000000004B00: E0502000 8003B702
	s_mul_i32 s60, 4, s6                                       // 000000004B08: 923C0684
	s_cmp_lt_i32 0, s72                                        // 000000004B0C: BF044880
	s_cselect_b32 s60, s60, 0                                  // 000000004B10: 853C803C
	v_add_u32_e32 v1, s60, v1                                  // 000000004B14: 6802023C
	v_add_u32_e32 v2, s60, v2                                  // 000000004B18: 6804043C
	buffer_load_dword v184, v1, s[12:15], 0 idxen              // 000000004B1C: E0502000 8003B801
	buffer_load_dword v185, v2, s[12:15], 0 idxen              // 000000004B24: E0502000 8003B902
	s_mul_i32 s60, 4, s6                                       // 000000004B2C: 923C0684
	s_cmp_lt_i32 0, s72                                        // 000000004B30: BF044880
	s_cselect_b32 s60, s60, 0                                  // 000000004B34: 853C803C
	v_add_u32_e32 v1, s60, v1                                  // 000000004B38: 6802023C
	v_add_u32_e32 v2, s60, v2                                  // 000000004B3C: 6804043C
	buffer_load_dword v186, v1, s[12:15], 0 idxen              // 000000004B40: E0502000 8003BA01
	buffer_load_dword v187, v2, s[12:15], 0 idxen              // 000000004B48: E0502000 8003BB02
	s_mul_i32 s60, 4, s6                                       // 000000004B50: 923C0684
	s_cmp_lt_i32 1, s72                                        // 000000004B54: BF044881
	s_cselect_b32 s60, s60, 0                                  // 000000004B58: 853C803C
	v_add_u32_e32 v1, s60, v1                                  // 000000004B5C: 6802023C
	v_add_u32_e32 v2, s60, v2                                  // 000000004B60: 6804043C
	buffer_load_dword v188, v1, s[12:15], 0 idxen              // 000000004B64: E0502000 8003BC01
	buffer_load_dword v189, v2, s[12:15], 0 idxen              // 000000004B6C: E0502000 8003BD02
	s_mul_i32 s60, 4, s6                                       // 000000004B74: 923C0684
	s_cmp_lt_i32 1, s72                                        // 000000004B78: BF044881
	s_cselect_b32 s60, s60, 0                                  // 000000004B7C: 853C803C
	v_add_u32_e32 v1, s60, v1                                  // 000000004B80: 6802023C
	v_add_u32_e32 v2, s60, v2                                  // 000000004B84: 6804043C
	buffer_load_dword v190, v1, s[12:15], 0 idxen              // 000000004B88: E0502000 8003BE01
	buffer_load_dword v191, v2, s[12:15], 0 idxen              // 000000004B90: E0502000 8003BF02
	s_mul_i32 s60, 4, s6                                       // 000000004B98: 923C0684
	s_cmp_lt_i32 1, s72                                        // 000000004B9C: BF044881
	s_cselect_b32 s60, s60, 0                                  // 000000004BA0: 853C803C
	v_add_u32_e32 v1, s60, v1                                  // 000000004BA4: 6802023C
	v_add_u32_e32 v2, s60, v2                                  // 000000004BA8: 6804043C
	buffer_load_dword v192, v1, s[12:15], 0 idxen              // 000000004BAC: E0502000 8003C001
	buffer_load_dword v193, v2, s[12:15], 0 idxen              // 000000004BB4: E0502000 8003C102
	s_mul_i32 s60, 4, s6                                       // 000000004BBC: 923C0684
	s_cmp_lt_i32 1, s72                                        // 000000004BC0: BF044881
	s_cselect_b32 s60, s60, 0                                  // 000000004BC4: 853C803C
	v_add_u32_e32 v1, s60, v1                                  // 000000004BC8: 6802023C
	v_add_u32_e32 v2, s60, v2                                  // 000000004BCC: 6804043C
	buffer_load_dword v194, v1, s[12:15], 0 idxen              // 000000004BD0: E0502000 8003C201
	buffer_load_dword v195, v2, s[12:15], 0 idxen              // 000000004BD8: E0502000 8003C302
	s_mul_i32 s60, 4, s6                                       // 000000004BE0: 923C0684
	s_cmp_lt_i32 2, s72                                        // 000000004BE4: BF044882
	s_cselect_b32 s60, s60, 0                                  // 000000004BE8: 853C803C
	v_add_u32_e32 v1, s60, v1                                  // 000000004BEC: 6802023C
	v_add_u32_e32 v2, s60, v2                                  // 000000004BF0: 6804043C
	buffer_load_dword v196, v1, s[12:15], 0 idxen              // 000000004BF4: E0502000 8003C401
	buffer_load_dword v197, v2, s[12:15], 0 idxen              // 000000004BFC: E0502000 8003C502
	s_mul_i32 s60, 4, s6                                       // 000000004C04: 923C0684
	s_cmp_lt_i32 2, s72                                        // 000000004C08: BF044882
	s_cselect_b32 s60, s60, 0                                  // 000000004C0C: 853C803C
	v_add_u32_e32 v1, s60, v1                                  // 000000004C10: 6802023C
	v_add_u32_e32 v2, s60, v2                                  // 000000004C14: 6804043C
	buffer_load_dword v198, v1, s[12:15], 0 idxen              // 000000004C18: E0502000 8003C601
	buffer_load_dword v199, v2, s[12:15], 0 idxen              // 000000004C20: E0502000 8003C702
	s_mul_i32 s60, 4, s6                                       // 000000004C28: 923C0684
	s_cmp_lt_i32 2, s72                                        // 000000004C2C: BF044882
	s_cselect_b32 s60, s60, 0                                  // 000000004C30: 853C803C
	v_add_u32_e32 v1, s60, v1                                  // 000000004C34: 6802023C
	v_add_u32_e32 v2, s60, v2                                  // 000000004C38: 6804043C
	buffer_load_dword v200, v1, s[12:15], 0 idxen              // 000000004C3C: E0502000 8003C801
	buffer_load_dword v201, v2, s[12:15], 0 idxen              // 000000004C44: E0502000 8003C902
	s_mul_i32 s60, 4, s6                                       // 000000004C4C: 923C0684
	s_cmp_lt_i32 2, s72                                        // 000000004C50: BF044882
	s_cselect_b32 s60, s60, 0                                  // 000000004C54: 853C803C
	v_add_u32_e32 v1, s60, v1                                  // 000000004C58: 6802023C
	v_add_u32_e32 v2, s60, v2                                  // 000000004C5C: 6804043C
	buffer_load_dword v202, v1, s[12:15], 0 idxen              // 000000004C60: E0502000 8003CA01
	buffer_load_dword v203, v2, s[12:15], 0 idxen              // 000000004C68: E0502000 8003CB02
	s_mul_i32 s60, 4, s6                                       // 000000004C70: 923C0684
	s_cmp_lt_i32 3, s72                                        // 000000004C74: BF044883
	s_cselect_b32 s60, s60, 0                                  // 000000004C78: 853C803C
	v_add_u32_e32 v1, s60, v1                                  // 000000004C7C: 6802023C
	v_add_u32_e32 v2, s60, v2                                  // 000000004C80: 6804043C
	s_waitcnt vmcnt(16) lgkmcnt(0)                             // 000000004C84: BF8C4070
	s_barrier                                                  // 000000004C88: BF8A0000
	s_cmp_lt_i32 0, s72                                        // 000000004C8C: BF044880
	s_cbranch_scc1 label_032D                                  // 000000004C90: BF850008
	v_mov_b32_e32 v180, 0                                      // 000000004C94: 7F680280
	v_mov_b32_e32 v181, 0                                      // 000000004C98: 7F6A0280
	v_mov_b32_e32 v182, 0                                      // 000000004C9C: 7F6C0280
	v_mov_b32_e32 v183, 0                                      // 000000004CA0: 7F6E0280
	v_mov_b32_e32 v184, 0                                      // 000000004CA4: 7F700280
	v_mov_b32_e32 v185, 0                                      // 000000004CA8: 7F720280
	v_mov_b32_e32 v186, 0                                      // 000000004CAC: 7F740280
	v_mov_b32_e32 v187, 0                                      // 000000004CB0: 7F760280

0000000000004cb4 <label_032D>:
	v_perm_b32 v204, v181, v180, s63                           // 000000004CB4: D1ED00CC 00FF69B5
	v_perm_b32 v205, v181, v180, s64                           // 000000004CBC: D1ED00CD 010369B5
	v_perm_b32 v206, v183, v182, s63                           // 000000004CC4: D1ED00CE 00FF6DB7
	v_perm_b32 v207, v183, v182, s64                           // 000000004CCC: D1ED00CF 01036DB7
	v_perm_b32 v208, v185, v184, s63                           // 000000004CD4: D1ED00D0 00FF71B9
	v_perm_b32 v209, v185, v184, s64                           // 000000004CDC: D1ED00D1 010371B9
	v_perm_b32 v210, v187, v186, s63                           // 000000004CE4: D1ED00D2 00FF75BB
	v_perm_b32 v211, v187, v186, s64                           // 000000004CEC: D1ED00D3 010375BB
	ds_write_b32 v15, v204 offset:8704                         // 000000004CF4: D81A2200 0000CC0F
	ds_write_b32 v15, v205 offset:9760                         // 000000004CFC: D81A2620 0000CD0F
	ds_write_b32 v15, v206 offset:10880                        // 000000004D04: D81A2A80 0000CE0F
	ds_write_b32 v15, v207 offset:11936                        // 000000004D0C: D81A2EA0 0000CF0F
	ds_write_b32 v15, v208 offset:13056                        // 000000004D14: D81A3300 0000D00F
	ds_write_b32 v15, v209 offset:14112                        // 000000004D1C: D81A3720 0000D10F
	ds_write_b32 v15, v210 offset:15232                        // 000000004D24: D81A3B80 0000D20F
	ds_write_b32 v15, v211 offset:16288                        // 000000004D2C: D81A3FA0 0000D30F
	ds_write_b32 v13, v180                                     // 000000004D34: D81A0000 0000B40D
	ds_write_b32 v13, v181 offset:1056                         // 000000004D3C: D81A0420 0000B50D
	ds_write_b32 v13, v182 offset:2176                         // 000000004D44: D81A0880 0000B60D
	ds_write_b32 v13, v183 offset:3232                         // 000000004D4C: D81A0CA0 0000B70D
	ds_write_b32 v13, v184 offset:4352                         // 000000004D54: D81A1100 0000B80D
	ds_write_b32 v13, v185 offset:5408                         // 000000004D5C: D81A1520 0000B90D
	ds_write_b32 v13, v186 offset:6528                         // 000000004D64: D81A1980 0000BA0D
	ds_write_b32 v13, v187 offset:7584                         // 000000004D6C: D81A1DA0 0000BB0D
	buffer_load_dword v180, v232, s[16:19], 0 idxen            // 000000004D74: E0502000 8004B4E8
	buffer_load_dword v181, v233, s[16:19], 0 idxen            // 000000004D7C: E0502000 8004B5E9
	s_mul_i32 s60, 4, s7                                       // 000000004D84: 923C0784
	s_cmp_lt_i32 0, s72                                        // 000000004D88: BF044880
	s_cselect_b32 s60, s60, 0                                  // 000000004D8C: 853C803C
	v_add_u32_e32 v232, s60, v232                              // 000000004D90: 69D1D03C
	v_add_u32_e32 v233, s60, v233                              // 000000004D94: 69D3D23C
	buffer_load_dword v182, v232, s[16:19], 0 idxen            // 000000004D98: E0502000 8004B6E8
	buffer_load_dword v183, v233, s[16:19], 0 idxen            // 000000004DA0: E0502000 8004B7E9
	s_mul_i32 s60, 4, s7                                       // 000000004DA8: 923C0784
	s_cmp_lt_i32 0, s72                                        // 000000004DAC: BF044880
	s_cselect_b32 s60, s60, 0                                  // 000000004DB0: 853C803C
	v_add_u32_e32 v232, s60, v232                              // 000000004DB4: 69D1D03C
	v_add_u32_e32 v233, s60, v233                              // 000000004DB8: 69D3D23C
	buffer_load_dword v184, v232, s[16:19], 0 idxen            // 000000004DBC: E0502000 8004B8E8
	buffer_load_dword v185, v233, s[16:19], 0 idxen            // 000000004DC4: E0502000 8004B9E9
	s_mul_i32 s60, 4, s7                                       // 000000004DCC: 923C0784
	s_cmp_lt_i32 0, s72                                        // 000000004DD0: BF044880
	s_cselect_b32 s60, s60, 0                                  // 000000004DD4: 853C803C
	v_add_u32_e32 v232, s60, v232                              // 000000004DD8: 69D1D03C
	v_add_u32_e32 v233, s60, v233                              // 000000004DDC: 69D3D23C
	buffer_load_dword v186, v232, s[16:19], 0 idxen            // 000000004DE0: E0502000 8004BAE8
	buffer_load_dword v187, v233, s[16:19], 0 idxen            // 000000004DE8: E0502000 8004BBE9
	s_mul_i32 s60, 4, s7                                       // 000000004DF0: 923C0784
	s_cmp_lt_i32 1, s72                                        // 000000004DF4: BF044881
	s_cselect_b32 s60, s60, 0                                  // 000000004DF8: 853C803C
	v_add_u32_e32 v232, s60, v232                              // 000000004DFC: 69D1D03C
	v_add_u32_e32 v233, s60, v233                              // 000000004E00: 69D3D23C
	s_waitcnt lgkmcnt(0)                                       // 000000004E04: BF8CC07F
	s_barrier                                                  // 000000004E08: BF8A0000
	ds_read_b128 a[24:27], v25 offset:8704                     // 000000004E0C: DBFE2200 18000019
	ds_read_b128 a[28:31], v25 offset:8960                     // 000000004E14: DBFE2300 1C000019
	ds_read_b128 a[32:35], v25 offset:13056                    // 000000004E1C: DBFE3300 20000019
	ds_read_b128 a[36:39], v25 offset:13312                    // 000000004E24: DBFE3400 24000019
	ds_read_b128 a[0:3], v24                                   // 000000004E2C: DBFE0000 00000018
	ds_read_b128 a[4:7], v24 offset:512                        // 000000004E34: DBFE0200 04000018
	s_waitcnt vmcnt(16) lgkmcnt(0)                             // 000000004E3C: BF8C4070
	s_barrier                                                  // 000000004E40: BF8A0000
	s_cmp_lt_i32 1, s72                                        // 000000004E44: BF044881
	s_cbranch_scc1 label_039B                                  // 000000004E48: BF850008
	v_mov_b32_e32 v188, 0                                      // 000000004E4C: 7F780280
	v_mov_b32_e32 v189, 0                                      // 000000004E50: 7F7A0280
	v_mov_b32_e32 v190, 0                                      // 000000004E54: 7F7C0280
	v_mov_b32_e32 v191, 0                                      // 000000004E58: 7F7E0280
	v_mov_b32_e32 v192, 0                                      // 000000004E5C: 7F800280
	v_mov_b32_e32 v193, 0                                      // 000000004E60: 7F820280
	v_mov_b32_e32 v194, 0                                      // 000000004E64: 7F840280
	v_mov_b32_e32 v195, 0                                      // 000000004E68: 7F860280

0000000000004e6c <label_039B>:
	v_perm_b32 v204, v189, v188, s63                           // 000000004E6C: D1ED00CC 00FF79BD
	v_perm_b32 v205, v189, v188, s64                           // 000000004E74: D1ED00CD 010379BD
	v_perm_b32 v206, v191, v190, s63                           // 000000004E7C: D1ED00CE 00FF7DBF
	v_perm_b32 v207, v191, v190, s64                           // 000000004E84: D1ED00CF 01037DBF
	v_perm_b32 v208, v193, v192, s63                           // 000000004E8C: D1ED00D0 00FF81C1
	v_perm_b32 v209, v193, v192, s64                           // 000000004E94: D1ED00D1 010381C1
	v_perm_b32 v210, v195, v194, s63                           // 000000004E9C: D1ED00D2 00FF85C3
	v_perm_b32 v211, v195, v194, s64                           // 000000004EA4: D1ED00D3 010385C3
	ds_write_b32 v15, v204 offset:8704                         // 000000004EAC: D81A2200 0000CC0F
	ds_write_b32 v15, v205 offset:9760                         // 000000004EB4: D81A2620 0000CD0F
	ds_write_b32 v15, v206 offset:10880                        // 000000004EBC: D81A2A80 0000CE0F
	ds_write_b32 v15, v207 offset:11936                        // 000000004EC4: D81A2EA0 0000CF0F
	ds_write_b32 v15, v208 offset:13056                        // 000000004ECC: D81A3300 0000D00F
	ds_write_b32 v15, v209 offset:14112                        // 000000004ED4: D81A3720 0000D10F
	ds_write_b32 v15, v210 offset:15232                        // 000000004EDC: D81A3B80 0000D20F
	ds_write_b32 v15, v211 offset:16288                        // 000000004EE4: D81A3FA0 0000D30F
	ds_write_b32 v13, v188                                     // 000000004EEC: D81A0000 0000BC0D
	ds_write_b32 v13, v189 offset:1056                         // 000000004EF4: D81A0420 0000BD0D
	ds_write_b32 v13, v190 offset:2176                         // 000000004EFC: D81A0880 0000BE0D
	ds_write_b32 v13, v191 offset:3232                         // 000000004F04: D81A0CA0 0000BF0D
	ds_write_b32 v13, v192 offset:4352                         // 000000004F0C: D81A1100 0000C00D
	ds_write_b32 v13, v193 offset:5408                         // 000000004F14: D81A1520 0000C10D
	ds_write_b32 v13, v194 offset:6528                         // 000000004F1C: D81A1980 0000C20D
	ds_write_b32 v13, v195 offset:7584                         // 000000004F24: D81A1DA0 0000C30D
	buffer_load_dword v188, v232, s[16:19], 0 idxen            // 000000004F2C: E0502000 8004BCE8
	buffer_load_dword v189, v233, s[16:19], 0 idxen            // 000000004F34: E0502000 8004BDE9
	s_mul_i32 s60, 4, s7                                       // 000000004F3C: 923C0784
	s_cmp_lt_i32 1, s72                                        // 000000004F40: BF044881
	s_cselect_b32 s60, s60, 0                                  // 000000004F44: 853C803C
	v_add_u32_e32 v232, s60, v232                              // 000000004F48: 69D1D03C
	v_add_u32_e32 v233, s60, v233                              // 000000004F4C: 69D3D23C
	buffer_load_dword v190, v232, s[16:19], 0 idxen            // 000000004F50: E0502000 8004BEE8
	buffer_load_dword v191, v233, s[16:19], 0 idxen            // 000000004F58: E0502000 8004BFE9
	s_mul_i32 s60, 4, s7                                       // 000000004F60: 923C0784
	s_cmp_lt_i32 1, s72                                        // 000000004F64: BF044881
	s_cselect_b32 s60, s60, 0                                  // 000000004F68: 853C803C
	v_add_u32_e32 v232, s60, v232                              // 000000004F6C: 69D1D03C
	v_add_u32_e32 v233, s60, v233                              // 000000004F70: 69D3D23C
	buffer_load_dword v192, v232, s[16:19], 0 idxen            // 000000004F74: E0502000 8004C0E8
	buffer_load_dword v193, v233, s[16:19], 0 idxen            // 000000004F7C: E0502000 8004C1E9
	s_mul_i32 s60, 4, s7                                       // 000000004F84: 923C0784
	s_cmp_lt_i32 1, s72                                        // 000000004F88: BF044881
	s_cselect_b32 s60, s60, 0                                  // 000000004F8C: 853C803C
	v_add_u32_e32 v232, s60, v232                              // 000000004F90: 69D1D03C
	v_add_u32_e32 v233, s60, v233                              // 000000004F94: 69D3D23C
	buffer_load_dword v194, v232, s[16:19], 0 idxen            // 000000004F98: E0502000 8004C2E8
	buffer_load_dword v195, v233, s[16:19], 0 idxen            // 000000004FA0: E0502000 8004C3E9
	s_mul_i32 s60, 4, s7                                       // 000000004FA8: 923C0784
	s_cmp_lt_i32 2, s72                                        // 000000004FAC: BF044882
	s_cselect_b32 s60, s60, 0                                  // 000000004FB0: 853C803C
	v_add_u32_e32 v232, s60, v232                              // 000000004FB4: 69D1D03C
	v_add_u32_e32 v233, s60, v233                              // 000000004FB8: 69D3D23C
	s_waitcnt lgkmcnt(0)                                       // 000000004FBC: BF8CC07F
	s_barrier                                                  // 000000004FC0: BF8A0000
	ds_read_b128 a[40:43], v25 offset:8704                     // 000000004FC4: DBFE2200 28000019
	ds_read_b128 a[44:47], v25 offset:8960                     // 000000004FCC: DBFE2300 2C000019
	ds_read_b128 a[48:51], v25 offset:13056                    // 000000004FD4: DBFE3300 30000019
	ds_read_b128 a[52:55], v25 offset:13312                    // 000000004FDC: DBFE3400 34000019
	ds_read_b128 a[8:11], v24                                  // 000000004FE4: DBFE0000 08000018
	ds_read_b128 a[12:15], v24 offset:512                      // 000000004FEC: DBFE0200 0C000018
	s_waitcnt vmcnt(16) lgkmcnt(0)                             // 000000004FF4: BF8C4070
	s_barrier                                                  // 000000004FF8: BF8A0000
	s_cmp_lt_i32 2, s72                                        // 000000004FFC: BF044882
	s_cbranch_scc1 label_0409                                  // 000000005000: BF850008
	v_mov_b32_e32 v196, 0                                      // 000000005004: 7F880280
	v_mov_b32_e32 v197, 0                                      // 000000005008: 7F8A0280
	v_mov_b32_e32 v198, 0                                      // 00000000500C: 7F8C0280
	v_mov_b32_e32 v199, 0                                      // 000000005010: 7F8E0280
	v_mov_b32_e32 v200, 0                                      // 000000005014: 7F900280
	v_mov_b32_e32 v201, 0                                      // 000000005018: 7F920280
	v_mov_b32_e32 v202, 0                                      // 00000000501C: 7F940280
	v_mov_b32_e32 v203, 0                                      // 000000005020: 7F960280

0000000000005024 <label_0409>:
	v_perm_b32 v204, v197, v196, s63                           // 000000005024: D1ED00CC 00FF89C5
	v_perm_b32 v205, v197, v196, s64                           // 00000000502C: D1ED00CD 010389C5
	v_perm_b32 v206, v199, v198, s63                           // 000000005034: D1ED00CE 00FF8DC7
	v_perm_b32 v207, v199, v198, s64                           // 00000000503C: D1ED00CF 01038DC7
	v_perm_b32 v208, v201, v200, s63                           // 000000005044: D1ED00D0 00FF91C9
	v_perm_b32 v209, v201, v200, s64                           // 00000000504C: D1ED00D1 010391C9
	v_perm_b32 v210, v203, v202, s63                           // 000000005054: D1ED00D2 00FF95CB
	v_perm_b32 v211, v203, v202, s64                           // 00000000505C: D1ED00D3 010395CB
	ds_write_b32 v15, v204 offset:8704                         // 000000005064: D81A2200 0000CC0F
	ds_write_b32 v15, v205 offset:9760                         // 00000000506C: D81A2620 0000CD0F
	ds_write_b32 v15, v206 offset:10880                        // 000000005074: D81A2A80 0000CE0F
	ds_write_b32 v15, v207 offset:11936                        // 00000000507C: D81A2EA0 0000CF0F
	ds_write_b32 v15, v208 offset:13056                        // 000000005084: D81A3300 0000D00F
	ds_write_b32 v15, v209 offset:14112                        // 00000000508C: D81A3720 0000D10F
	ds_write_b32 v15, v210 offset:15232                        // 000000005094: D81A3B80 0000D20F
	ds_write_b32 v15, v211 offset:16288                        // 00000000509C: D81A3FA0 0000D30F
	ds_write_b32 v13, v196                                     // 0000000050A4: D81A0000 0000C40D
	ds_write_b32 v13, v197 offset:1056                         // 0000000050AC: D81A0420 0000C50D
	ds_write_b32 v13, v198 offset:2176                         // 0000000050B4: D81A0880 0000C60D
	ds_write_b32 v13, v199 offset:3232                         // 0000000050BC: D81A0CA0 0000C70D
	ds_write_b32 v13, v200 offset:4352                         // 0000000050C4: D81A1100 0000C80D
	ds_write_b32 v13, v201 offset:5408                         // 0000000050CC: D81A1520 0000C90D
	ds_write_b32 v13, v202 offset:6528                         // 0000000050D4: D81A1980 0000CA0D
	ds_write_b32 v13, v203 offset:7584                         // 0000000050DC: D81A1DA0 0000CB0D
	buffer_load_dword v196, v232, s[16:19], 0 idxen            // 0000000050E4: E0502000 8004C4E8
	buffer_load_dword v197, v233, s[16:19], 0 idxen            // 0000000050EC: E0502000 8004C5E9
	s_mul_i32 s60, 4, s7                                       // 0000000050F4: 923C0784
	s_cmp_lt_i32 2, s72                                        // 0000000050F8: BF044882
	s_cselect_b32 s60, s60, 0                                  // 0000000050FC: 853C803C
	v_add_u32_e32 v232, s60, v232                              // 000000005100: 69D1D03C
	v_add_u32_e32 v233, s60, v233                              // 000000005104: 69D3D23C
	buffer_load_dword v198, v232, s[16:19], 0 idxen            // 000000005108: E0502000 8004C6E8
	buffer_load_dword v199, v233, s[16:19], 0 idxen            // 000000005110: E0502000 8004C7E9
	s_mul_i32 s60, 4, s7                                       // 000000005118: 923C0784
	s_cmp_lt_i32 2, s72                                        // 00000000511C: BF044882
	s_cselect_b32 s60, s60, 0                                  // 000000005120: 853C803C
	v_add_u32_e32 v232, s60, v232                              // 000000005124: 69D1D03C
	v_add_u32_e32 v233, s60, v233                              // 000000005128: 69D3D23C
	buffer_load_dword v200, v232, s[16:19], 0 idxen            // 00000000512C: E0502000 8004C8E8
	buffer_load_dword v201, v233, s[16:19], 0 idxen            // 000000005134: E0502000 8004C9E9
	s_mul_i32 s60, 4, s7                                       // 00000000513C: 923C0784
	s_cmp_lt_i32 2, s72                                        // 000000005140: BF044882
	s_cselect_b32 s60, s60, 0                                  // 000000005144: 853C803C
	v_add_u32_e32 v232, s60, v232                              // 000000005148: 69D1D03C
	v_add_u32_e32 v233, s60, v233                              // 00000000514C: 69D3D23C
	buffer_load_dword v202, v232, s[16:19], 0 idxen            // 000000005150: E0502000 8004CAE8
	buffer_load_dword v203, v233, s[16:19], 0 idxen            // 000000005158: E0502000 8004CBE9
	s_mul_i32 s60, 4, s7                                       // 000000005160: 923C0784
	s_cmp_lt_i32 3, s72                                        // 000000005164: BF044883
	s_cselect_b32 s60, s60, 0                                  // 000000005168: 853C803C
	v_add_u32_e32 v232, s60, v232                              // 00000000516C: 69D1D03C
	v_add_u32_e32 v233, s60, v233                              // 000000005170: 69D3D23C
	s_waitcnt lgkmcnt(0)                                       // 000000005174: BF8CC07F
	s_barrier                                                  // 000000005178: BF8A0000
	ds_read_b128 a[56:59], v25 offset:8704                     // 00000000517C: DBFE2200 38000019
	ds_read_b128 a[60:63], v25 offset:8960                     // 000000005184: DBFE2300 3C000019
	ds_read_b128 a[64:67], v25 offset:13056                    // 00000000518C: DBFE3300 40000019
	ds_read_b128 a[68:71], v25 offset:13312                    // 000000005194: DBFE3400 44000019
	ds_read_b128 a[16:19], v24                                 // 00000000519C: DBFE0000 10000018
	ds_read_b128 a[20:23], v24 offset:512                      // 0000000051A4: DBFE0200 14000018
	s_waitcnt vmcnt(16) lgkmcnt(0)                             // 0000000051AC: BF8C4070
	s_barrier                                                  // 0000000051B0: BF8A0000
	s_cmp_lt_i32 0, s72                                        // 0000000051B4: BF044880
	s_cbranch_scc1 label_0477                                  // 0000000051B8: BF850008
	v_mov_b32_e32 v180, 0                                      // 0000000051BC: 7F680280
	v_mov_b32_e32 v181, 0                                      // 0000000051C0: 7F6A0280
	v_mov_b32_e32 v182, 0                                      // 0000000051C4: 7F6C0280
	v_mov_b32_e32 v183, 0                                      // 0000000051C8: 7F6E0280
	v_mov_b32_e32 v184, 0                                      // 0000000051CC: 7F700280
	v_mov_b32_e32 v185, 0                                      // 0000000051D0: 7F720280
	v_mov_b32_e32 v186, 0                                      // 0000000051D4: 7F740280
	v_mov_b32_e32 v187, 0                                      // 0000000051D8: 7F760280

00000000000051dc <label_0477>:
	ds_write_b32 v13, v180                                     // 0000000051DC: D81A0000 0000B40D
	ds_write_b32 v13, v181 offset:1056                         // 0000000051E4: D81A0420 0000B50D
	ds_write_b32 v13, v182 offset:2176                         // 0000000051EC: D81A0880 0000B60D
	ds_write_b32 v13, v183 offset:3232                         // 0000000051F4: D81A0CA0 0000B70D
	ds_write_b32 v13, v184 offset:4352                         // 0000000051FC: D81A1100 0000B80D
	ds_write_b32 v13, v185 offset:5408                         // 000000005204: D81A1520 0000B90D
	ds_write_b32 v13, v186 offset:6528                         // 00000000520C: D81A1980 0000BA0D
	ds_write_b32 v13, v187 offset:7584                         // 000000005214: D81A1DA0 0000BB0D
	s_mov_b32 s71, s5                                          // 00000000521C: BEC70005
	v_lshrrev_b32_e32 v32, 4, v0                               // 000000005220: 20400084
	v_and_b32_e32 v33, 1, v32                                  // 000000005224: 26424081
	v_lshlrev_b32_e32 v33, 1, v33                              // 000000005228: 24424281
	v_mul_i32_i24_e32 v33, s71, v33                            // 00000000522C: 0C424247
	v_and_b32_e32 v34, 2, v32                                  // 000000005230: 26444082
	v_lshlrev_b32_e32 v34, 5, v34                              // 000000005234: 24444485
	v_add_u32_e32 v33, v34, v33                                // 000000005238: 68424322
	v_and_b32_e32 v32, 15, v0                                  // 00000000523C: 2640008F
	v_lshlrev_b32_e32 v32, 2, v32                              // 000000005240: 24404082
	v_add_u32_e32 v1, v32, v33                                 // 000000005244: 68024320
	s_mul_i32 s60, s46, s71                                    // 000000005248: 923C472E
	s_mul_i32 s60, s60, 4                                      // 00000000524C: 923C843C
	v_add_u32_e32 v1, s60, v1                                  // 000000005250: 6802023C
	v_add_u32_e32 v2, s71, v1                                  // 000000005254: 68040247
	s_mul_i32 s60, 16, s71                                     // 000000005258: 923C4790
	v_add_u32_e32 v3, s60, v1                                  // 00000000525C: 6806023C
	v_add_u32_e32 v4, s60, v2                                  // 000000005260: 6808043C
	s_mov_b32 s71, s51                                         // 000000005264: BEC70033
	v_lshrrev_b32_e32 v32, 4, v0                               // 000000005268: 20400084
	v_and_b32_e32 v33, 1, v32                                  // 00000000526C: 26424081
	v_lshlrev_b32_e32 v33, 1, v33                              // 000000005270: 24424281
	v_mul_i32_i24_e32 v33, s71, v33                            // 000000005274: 0C424247
	v_and_b32_e32 v34, 2, v32                                  // 000000005278: 26444082
	v_lshlrev_b32_e32 v34, 5, v34                              // 00000000527C: 24444485
	v_add_u32_e32 v33, v34, v33                                // 000000005280: 68424322
	v_and_b32_e32 v32, 15, v0                                  // 000000005284: 2640008F
	v_lshlrev_b32_e32 v32, 2, v32                              // 000000005288: 24404082
	v_add_u32_e32 v232, v32, v33                               // 00000000528C: 69D04320
	s_mul_i32 s60, s46, s71                                    // 000000005290: 923C472E
	s_mul_i32 s60, s60, 4                                      // 000000005294: 923C843C
	v_add_u32_e32 v232, s60, v232                              // 000000005298: 69D1D03C
	v_add_u32_e32 v233, s71, v232                              // 00000000529C: 69D3D047
	s_mul_i32 s60, 16, s71                                     // 0000000052A0: 923C4790
	v_add_u32_e32 v234, s60, v232                              // 0000000052A4: 69D5D03C
	v_add_u32_e32 v235, s60, v233                              // 0000000052A8: 69D7D23C
	v_lshrrev_b32_e32 v1, 2, v1                                // 0000000052AC: 20020282
	v_lshrrev_b32_e32 v2, 2, v2                                // 0000000052B0: 20040482
	v_lshrrev_b32_e32 v3, 2, v3                                // 0000000052B4: 20060682
	v_lshrrev_b32_e32 v4, 2, v4                                // 0000000052B8: 20080882
	v_lshrrev_b32_e32 v232, 2, v232                            // 0000000052BC: 21D1D082
	v_lshrrev_b32_e32 v233, 2, v233                            // 0000000052C0: 21D3D282
	v_lshrrev_b32_e32 v234, 2, v234                            // 0000000052C4: 21D5D482
	v_lshrrev_b32_e32 v235, 2, v235                            // 0000000052C8: 21D7D682
	buffer_load_dword v36, v1, s[8:11], 0 idxen                // 0000000052CC: E0502000 80022401
	buffer_load_dword v37, v2, s[8:11], 0 idxen                // 0000000052D4: E0502000 80022502
	buffer_load_dword v38, v3, s[8:11], 0 idxen                // 0000000052DC: E0502000 80022603
	buffer_load_dword v39, v4, s[8:11], 0 idxen                // 0000000052E4: E0502000 80022704
	buffer_load_dword v44, v232, s[20:23], 0 idxen             // 0000000052EC: E0502000 80052CE8
	buffer_load_dword v45, v233, s[20:23], 0 idxen             // 0000000052F4: E0502000 80052DE9
	buffer_load_dword v46, v234, s[20:23], 0 idxen             // 0000000052FC: E0502000 80052EEA
	buffer_load_dword v47, v235, s[20:23], 0 idxen             // 000000005304: E0502000 80052FEB
	s_waitcnt lgkmcnt(0)                                       // 00000000530C: BF8CC07F
	s_barrier                                                  // 000000005310: BF8A0000
	ds_read_b128 a[72:75], v24                                 // 000000005314: DBFE0000 48000018
	ds_read_b128 a[76:79], v24 offset:512                      // 00000000531C: DBFE0200 4C000018
	v_add_u32_e32 v1, s68, v1                                  // 000000005324: 68020244
	v_add_u32_e32 v2, s68, v2                                  // 000000005328: 68040444
	v_add_u32_e32 v3, s68, v3                                  // 00000000532C: 68060644
	v_add_u32_e32 v4, s68, v4                                  // 000000005330: 68080844
	v_add_u32_e32 v232, s100, v232                             // 000000005334: 69D1D064
	v_add_u32_e32 v233, s100, v233                             // 000000005338: 69D3D264
	v_add_u32_e32 v234, s100, v234                             // 00000000533C: 69D5D464
	v_add_u32_e32 v235, s100, v235                             // 000000005340: 69D7D664
	s_waitcnt vmcnt(16) lgkmcnt(0)                             // 000000005344: BF8C4070
	s_barrier                                                  // 000000005348: BF8A0000
	s_cmp_lt_i32 1, s72                                        // 00000000534C: BF044881
	s_cbranch_scc1 label_04DD                                  // 000000005350: BF850008
	v_mov_b32_e32 v188, 0                                      // 000000005354: 7F780280
	v_mov_b32_e32 v189, 0                                      // 000000005358: 7F7A0280
	v_mov_b32_e32 v190, 0                                      // 00000000535C: 7F7C0280
	v_mov_b32_e32 v191, 0                                      // 000000005360: 7F7E0280
	v_mov_b32_e32 v192, 0                                      // 000000005364: 7F800280
	v_mov_b32_e32 v193, 0                                      // 000000005368: 7F820280
	v_mov_b32_e32 v194, 0                                      // 00000000536C: 7F840280
	v_mov_b32_e32 v195, 0                                      // 000000005370: 7F860280

0000000000005374 <label_04DD>:
	ds_write_b32 v13, v188                                     // 000000005374: D81A0000 0000BC0D
	ds_write_b32 v13, v189 offset:1056                         // 00000000537C: D81A0420 0000BD0D
	ds_write_b32 v13, v190 offset:2176                         // 000000005384: D81A0880 0000BE0D
	ds_write_b32 v13, v191 offset:3232                         // 00000000538C: D81A0CA0 0000BF0D
	ds_write_b32 v13, v192 offset:4352                         // 000000005394: D81A1100 0000C00D
	ds_write_b32 v13, v193 offset:5408                         // 00000000539C: D81A1520 0000C10D
	ds_write_b32 v13, v194 offset:6528                         // 0000000053A4: D81A1980 0000C20D
	ds_write_b32 v13, v195 offset:7584                         // 0000000053AC: D81A1DA0 0000C30D
	buffer_load_dword v40, v1, s[8:11], 0 idxen                // 0000000053B4: E0502000 80022801
	buffer_load_dword v41, v2, s[8:11], 0 idxen                // 0000000053BC: E0502000 80022902
	buffer_load_dword v42, v3, s[8:11], 0 idxen                // 0000000053C4: E0502000 80022A03
	buffer_load_dword v43, v4, s[8:11], 0 idxen                // 0000000053CC: E0502000 80022B04
	buffer_load_dword v48, v232, s[20:23], 0 idxen             // 0000000053D4: E0502000 800530E8
	buffer_load_dword v49, v233, s[20:23], 0 idxen             // 0000000053DC: E0502000 800531E9
	buffer_load_dword v50, v234, s[20:23], 0 idxen             // 0000000053E4: E0502000 800532EA
	buffer_load_dword v51, v235, s[20:23], 0 idxen             // 0000000053EC: E0502000 800533EB
	s_waitcnt lgkmcnt(0)                                       // 0000000053F4: BF8CC07F
	s_barrier                                                  // 0000000053F8: BF8A0000
	ds_read_b128 a[80:83], v24                                 // 0000000053FC: DBFE0000 50000018
	ds_read_b128 a[84:87], v24 offset:512                      // 000000005404: DBFE0200 54000018
	s_add_u32 s60, 64, s59                                     // 00000000540C: 803C3BC0
	s_cmp_lt_u32 s60, s58                                      // 000000005410: BF0A3A3C
	s_cselect_b32 s68, s68, 0                                  // 000000005414: 85448044
	s_cselect_b32 s100, s100, 0                                // 000000005418: 85648064
	v_add_u32_e32 v1, s68, v1                                  // 00000000541C: 68020244
	v_add_u32_e32 v2, s68, v2                                  // 000000005420: 68040444
	v_add_u32_e32 v3, s68, v3                                  // 000000005424: 68060644
	;; [unrolled: 1-line block ×3, first 2 shown]
	v_add_u32_e32 v232, s100, v232                             // 00000000542C: 69D1D064
	v_add_u32_e32 v233, s100, v233                             // 000000005430: 69D3D264
	v_add_u32_e32 v234, s100, v234                             // 000000005434: 69D5D464
	v_add_u32_e32 v235, s100, v235                             // 000000005438: 69D7D664
	s_waitcnt vmcnt(16) lgkmcnt(0)                             // 00000000543C: BF8C4070
	s_barrier                                                  // 000000005440: BF8A0000
	s_cmp_lt_i32 2, s72                                        // 000000005444: BF044882
	s_cbranch_scc1 label_051B                                  // 000000005448: BF850008
	v_mov_b32_e32 v196, 0                                      // 00000000544C: 7F880280
	v_mov_b32_e32 v197, 0                                      // 000000005450: 7F8A0280
	v_mov_b32_e32 v198, 0                                      // 000000005454: 7F8C0280
	v_mov_b32_e32 v199, 0                                      // 000000005458: 7F8E0280
	v_mov_b32_e32 v200, 0                                      // 00000000545C: 7F900280
	v_mov_b32_e32 v201, 0                                      // 000000005460: 7F920280
	v_mov_b32_e32 v202, 0                                      // 000000005464: 7F940280
	v_mov_b32_e32 v203, 0                                      // 000000005468: 7F960280

000000000000546c <label_051B>:
	ds_write_b32 v13, v196                                     // 00000000546C: D81A0000 0000C40D
	ds_write_b32 v13, v197 offset:1056                         // 000000005474: D81A0420 0000C50D
	ds_write_b32 v13, v198 offset:2176                         // 00000000547C: D81A0880 0000C60D
	ds_write_b32 v13, v199 offset:3232                         // 000000005484: D81A0CA0 0000C70D
	ds_write_b32 v13, v200 offset:4352                         // 00000000548C: D81A1100 0000C80D
	ds_write_b32 v13, v201 offset:5408                         // 000000005494: D81A1520 0000C90D
	ds_write_b32 v13, v202 offset:6528                         // 00000000549C: D81A1980 0000CA0D
	ds_write_b32 v13, v203 offset:7584                         // 0000000054A4: D81A1DA0 0000CB0D
	s_waitcnt lgkmcnt(0)                                       // 0000000054AC: BF8CC07F
	s_barrier                                                  // 0000000054B0: BF8A0000
	ds_read_b128 a[88:91], v24                                 // 0000000054B4: DBFE0000 58000018
	ds_read_b128 a[92:95], v24 offset:512                      // 0000000054BC: DBFE0200 5C000018
	s_waitcnt vmcnt(8) lgkmcnt(0)                              // 0000000054C4: BF8C0078
	s_barrier                                                  // 0000000054C8: BF8A0000
	buffer_load_dword v11, s[24:27], 0 idxen lds               // 0000000054CC: E0512000 8006000B
	s_mov_b32 m0, s81                                          // 0000000054D4: BEFC0051
	v_add_u32_e32 v11, s69, v11                                // 0000000054D8: 68161645
	v_perm_b32 v100, v37, v36, s63                             // 0000000054DC: D1ED0064 00FE4925
	v_perm_b32 v101, v37, v36, s64                             // 0000000054E4: D1ED0065 01024925
	v_perm_b32 v102, v39, v38, s63                             // 0000000054EC: D1ED0066 00FE4D27
	v_perm_b32 v103, v39, v38, s64                             // 0000000054F4: D1ED0067 01024D27
	ds_write_b32 v15, v100 offset:4352                         // 0000000054FC: D81A1100 0000640F
	ds_write_b32 v15, v101 offset:5408                         // 000000005504: D81A1520 0000650F
	ds_write_b32 v15, v102 offset:6528                         // 00000000550C: D81A1980 0000660F
	ds_write_b32 v15, v103 offset:7584                         // 000000005514: D81A1DA0 0000670F
	ds_write_b32 v13, v36                                      // 00000000551C: D81A0000 0000240D
	ds_write_b32 v13, v37 offset:1056                          // 000000005524: D81A0420 0000250D
	ds_write_b32 v13, v38 offset:2176                          // 00000000552C: D81A0880 0000260D
	ds_write_b32 v13, v39 offset:3232                          // 000000005534: D81A0CA0 0000270D
	buffer_load_dword v11, s[24:27], 0 idxen lds               // 00000000553C: E0512000 8006000B
	s_add_u32 s60, 64, s59                                     // 000000005544: 803C3BC0
	s_cmp_lt_u32 s60, s58                                      // 000000005548: BF0A3A3C
	s_cselect_b32 s69, s69, 0                                  // 00000000554C: 85458045
	s_mov_b32 m0, s80                                          // 000000005550: BEFC0050
	v_add_u32_e32 v11, s69, v11                                // 000000005554: 68161645
	v_perm_b32 v104, v45, v44, s63                             // 000000005558: D1ED0068 00FE592D
	v_perm_b32 v105, v45, v44, s64                             // 000000005560: D1ED0069 0102592D
	v_perm_b32 v106, v47, v46, s63                             // 000000005568: D1ED006A 00FE5D2F
	v_perm_b32 v107, v47, v46, s64                             // 000000005570: D1ED006B 01025D2F
	ds_write_b32 v15, v104 offset:13056                        // 000000005578: D81A3300 0000680F
	ds_write_b32 v15, v105 offset:14112                        // 000000005580: D81A3720 0000690F
	ds_write_b32 v15, v106 offset:15232                        // 000000005588: D81A3B80 00006A0F
	ds_write_b32 v15, v107 offset:16288                        // 000000005590: D81A3FA0 00006B0F
	ds_write_b32 v13, v44 offset:8704                          // 000000005598: D81A2200 00002C0D
	ds_write_b32 v13, v45 offset:9760                          // 0000000055A0: D81A2620 00002D0D
	ds_write_b32 v13, v46 offset:10880                         // 0000000055A8: D81A2A80 00002E0D
	ds_write_b32 v13, v47 offset:11936                         // 0000000055B0: D81A2EA0 00002F0D
	s_waitcnt vmcnt(1) lgkmcnt(0)                              // 0000000055B8: BF8C0071
	s_barrier                                                  // 0000000055BC: BF8A0000
	ds_read_b128 a[96:99], v12                                 // 0000000055C0: DBFE0000 6000000C
	ds_read_b128 a[100:103], v12 offset:512                    // 0000000055C8: DBFE0200 6400000C
	ds_read_b128 a[104:107], v12 offset:2176                   // 0000000055D0: DBFE0880 6800000C
	ds_read_b128 a[108:111], v12 offset:2688                   // 0000000055D8: DBFE0A80 6C00000C
	ds_read_b128 v[108:111], v12 offset:8704                   // 0000000055E0: D9FE2200 6C00000C
	ds_read_b128 v[112:115], v12 offset:9216                   // 0000000055E8: D9FE2400 7000000C
	ds_read_b128 v[116:119], v12 offset:10880                  // 0000000055F0: D9FE2A80 7400000C
	ds_read_b128 v[120:123], v12 offset:11392                  // 0000000055F8: D9FE2C80 7800000C
	ds_read_b32 v140, v23 offset:39424                         // 000000005600: D86C9A00 8C000017
	ds_read_b32 v144, v23 offset:39488                         // 000000005608: D86C9A40 90000017
	ds_read_b32 v176, v23 offset:39680                         // 000000005610: D86C9B00 B0000017
	ds_read_b32 v177, v23 offset:39744                         // 000000005618: D86C9B40 B1000017
	v_accvgpr_write_b32 a112, 0                                // 000000005620: D3D94070 18000080
	v_mov_b32_e32 v180, 0                                      // 000000005628: 7F680280
	v_accvgpr_write_b32 a113, 0                                // 00000000562C: D3D94071 18000080
	v_mov_b32_e32 v181, 0                                      // 000000005634: 7F6A0280
	v_accvgpr_write_b32 a114, 0                                // 000000005638: D3D94072 18000080
	v_mov_b32_e32 v182, 0                                      // 000000005640: 7F6C0280
	v_accvgpr_write_b32 a115, 0                                // 000000005644: D3D94073 18000080
	v_mov_b32_e32 v183, 0                                      // 00000000564C: 7F6E0280
	v_accvgpr_write_b32 a116, 0                                // 000000005650: D3D94074 18000080
	v_mov_b32_e32 v184, 0                                      // 000000005658: 7F700280
	v_accvgpr_write_b32 a117, 0                                // 00000000565C: D3D94075 18000080
	v_mov_b32_e32 v185, 0                                      // 000000005664: 7F720280
	v_accvgpr_write_b32 a118, 0                                // 000000005668: D3D94076 18000080
	v_mov_b32_e32 v186, 0                                      // 000000005670: 7F740280
	v_accvgpr_write_b32 a119, 0                                // 000000005674: D3D94077 18000080
	v_mov_b32_e32 v187, 0                                      // 00000000567C: 7F760280
	v_accvgpr_write_b32 a120, 0                                // 000000005680: D3D94078 18000080
	v_mov_b32_e32 v188, 0                                      // 000000005688: 7F780280
	v_accvgpr_write_b32 a121, 0                                // 00000000568C: D3D94079 18000080
	v_mov_b32_e32 v189, 0                                      // 000000005694: 7F7A0280
	v_accvgpr_write_b32 a122, 0                                // 000000005698: D3D9407A 18000080
	v_mov_b32_e32 v190, 0                                      // 0000000056A0: 7F7C0280
	v_accvgpr_write_b32 a123, 0                                // 0000000056A4: D3D9407B 18000080
	v_mov_b32_e32 v191, 0                                      // 0000000056AC: 7F7E0280
	v_accvgpr_write_b32 a124, 0                                // 0000000056B0: D3D9407C 18000080
	v_mov_b32_e32 v192, 0                                      // 0000000056B8: 7F800280
	v_accvgpr_write_b32 a125, 0                                // 0000000056BC: D3D9407D 18000080
	v_mov_b32_e32 v193, 0                                      // 0000000056C4: 7F820280
	v_accvgpr_write_b32 a126, 0                                // 0000000056C8: D3D9407E 18000080
	v_mov_b32_e32 v194, 0                                      // 0000000056D0: 7F840280
	v_accvgpr_write_b32 a127, 0                                // 0000000056D4: D3D9407F 18000080
	v_mov_b32_e32 v195, 0                                      // 0000000056DC: 7F860280
	v_accvgpr_write_b32 a128, 0                                // 0000000056E0: D3D94080 18000080
	v_mov_b32_e32 v196, 0                                      // 0000000056E8: 7F880280
	v_accvgpr_write_b32 a129, 0                                // 0000000056EC: D3D94081 18000080
	v_mov_b32_e32 v197, 0                                      // 0000000056F4: 7F8A0280
	v_accvgpr_write_b32 a130, 0                                // 0000000056F8: D3D94082 18000080
	v_mov_b32_e32 v198, 0                                      // 000000005700: 7F8C0280
	v_accvgpr_write_b32 a131, 0                                // 000000005704: D3D94083 18000080
	v_mov_b32_e32 v199, 0                                      // 00000000570C: 7F8E0280
	v_accvgpr_write_b32 a132, 0                                // 000000005710: D3D94084 18000080
	v_mov_b32_e32 v200, 0                                      // 000000005718: 7F900280
	v_accvgpr_write_b32 a133, 0                                // 00000000571C: D3D94085 18000080
	v_mov_b32_e32 v201, 0                                      // 000000005724: 7F920280
	v_accvgpr_write_b32 a134, 0                                // 000000005728: D3D94086 18000080
	v_mov_b32_e32 v202, 0                                      // 000000005730: 7F940280
	v_accvgpr_write_b32 a135, 0                                // 000000005734: D3D94087 18000080
	v_mov_b32_e32 v203, 0                                      // 00000000573C: 7F960280
	v_accvgpr_write_b32 a136, 0                                // 000000005740: D3D94088 18000080
	v_mov_b32_e32 v204, 0                                      // 000000005748: 7F980280
	v_accvgpr_write_b32 a137, 0                                // 00000000574C: D3D94089 18000080
	v_mov_b32_e32 v205, 0                                      // 000000005754: 7F9A0280
	v_accvgpr_write_b32 a138, 0                                // 000000005758: D3D9408A 18000080
	v_mov_b32_e32 v206, 0                                      // 000000005760: 7F9C0280
	v_accvgpr_write_b32 a139, 0                                // 000000005764: D3D9408B 18000080
	v_mov_b32_e32 v207, 0                                      // 00000000576C: 7F9E0280
	v_accvgpr_write_b32 a140, 0                                // 000000005770: D3D9408C 18000080
	v_mov_b32_e32 v208, 0                                      // 000000005778: 7FA00280
	v_accvgpr_write_b32 a141, 0                                // 00000000577C: D3D9408D 18000080
	v_mov_b32_e32 v209, 0                                      // 000000005784: 7FA20280
	v_accvgpr_write_b32 a142, 0                                // 000000005788: D3D9408E 18000080
	v_mov_b32_e32 v210, 0                                      // 000000005790: 7FA40280
	v_accvgpr_write_b32 a143, 0                                // 000000005794: D3D9408F 18000080
	v_mov_b32_e32 v211, 0                                      // 00000000579C: 7FA60280
	v_accvgpr_write_b32 a144, 0                                // 0000000057A0: D3D94090 18000080
	v_mov_b32_e32 v212, 0                                      // 0000000057A8: 7FA80280
	v_accvgpr_write_b32 a145, 0                                // 0000000057AC: D3D94091 18000080
	v_mov_b32_e32 v213, 0                                      // 0000000057B4: 7FAA0280
	v_accvgpr_write_b32 a146, 0                                // 0000000057B8: D3D94092 18000080
	v_mov_b32_e32 v214, 0                                      // 0000000057C0: 7FAC0280
	v_accvgpr_write_b32 a147, 0                                // 0000000057C4: D3D94093 18000080
	v_mov_b32_e32 v215, 0                                      // 0000000057CC: 7FAE0280
	v_accvgpr_write_b32 a148, 0                                // 0000000057D0: D3D94094 18000080
	v_mov_b32_e32 v216, 0                                      // 0000000057D8: 7FB00280
	v_accvgpr_write_b32 a149, 0                                // 0000000057DC: D3D94095 18000080
	v_mov_b32_e32 v217, 0                                      // 0000000057E4: 7FB20280
	v_accvgpr_write_b32 a150, 0                                // 0000000057E8: D3D94096 18000080
	v_mov_b32_e32 v218, 0                                      // 0000000057F0: 7FB40280
	v_accvgpr_write_b32 a151, 0                                // 0000000057F4: D3D94097 18000080
	v_mov_b32_e32 v219, 0                                      // 0000000057FC: 7FB60280
	v_accvgpr_write_b32 a152, 0                                // 000000005800: D3D94098 18000080
	v_mov_b32_e32 v220, 0                                      // 000000005808: 7FB80280
	v_accvgpr_write_b32 a153, 0                                // 00000000580C: D3D94099 18000080
	v_mov_b32_e32 v221, 0                                      // 000000005814: 7FBA0280
	v_accvgpr_write_b32 a154, 0                                // 000000005818: D3D9409A 18000080
	v_mov_b32_e32 v222, 0                                      // 000000005820: 7FBC0280
	v_accvgpr_write_b32 a155, 0                                // 000000005824: D3D9409B 18000080
	v_mov_b32_e32 v223, 0                                      // 00000000582C: 7FBE0280
	v_accvgpr_write_b32 a156, 0                                // 000000005830: D3D9409C 18000080
	v_mov_b32_e32 v224, 0                                      // 000000005838: 7FC00280
	v_accvgpr_write_b32 a157, 0                                // 00000000583C: D3D9409D 18000080
	v_mov_b32_e32 v225, 0                                      // 000000005844: 7FC20280
	v_accvgpr_write_b32 a158, 0                                // 000000005848: D3D9409E 18000080
	v_mov_b32_e32 v226, 0                                      // 000000005850: 7FC40280
	v_accvgpr_write_b32 a159, 0                                // 000000005854: D3D9409F 18000080
	v_mov_b32_e32 v227, 0                                      // 00000000585C: 7FC60280
	v_mov_b32_e32 v156, 0                                      // 000000005860: 7F380280
	v_mov_b32_e32 v157, 0                                      // 000000005864: 7F3A0280
	v_mov_b32_e32 v158, 0                                      // 000000005868: 7F3C0280
	v_mov_b32_e32 v159, 0                                      // 00000000586C: 7F3E0280
	v_mov_b32_e32 v160, 0                                      // 000000005870: 7F400280
	v_mov_b32_e32 v161, 0                                      // 000000005874: 7F420280
	v_mov_b32_e32 v162, 0                                      // 000000005878: 7F440280
	v_mov_b32_e32 v163, 0                                      // 00000000587C: 7F460280
	v_mov_b32_e32 v148, 0                                      // 000000005880: 7F280280
	v_mov_b32_e32 v149, 0                                      // 000000005884: 7F2A0280
	v_mov_b32_e32 v150, 0                                      // 000000005888: 7F2C0280
	v_mov_b32_e32 v151, 0                                      // 00000000588C: 7F2E0280
	v_mov_b32_e32 v152, 0                                      // 000000005890: 7F300280
	v_mov_b32_e32 v153, 0                                      // 000000005894: 7F320280
	v_mov_b32_e32 v154, 0                                      // 000000005898: 7F340280
	v_mov_b32_e32 v155, 0                                      // 00000000589C: 7F360280
	s_waitcnt lgkmcnt(0)                                       // 0000000058A0: BF8CC07F
	s_barrier                                                  // 0000000058A4: BF8A0000
	buffer_load_dword v36, v1, s[8:11], 0 idxen                // 0000000058A8: E0502000 80022401
	buffer_load_dword v37, v2, s[8:11], 0 idxen                // 0000000058B0: E0502000 80022502
	buffer_load_dword v38, v3, s[8:11], 0 idxen                // 0000000058B8: E0502000 80022603
	buffer_load_dword v39, v4, s[8:11], 0 idxen                // 0000000058C0: E0502000 80022704
	buffer_load_dword v44, v232, s[20:23], 0 idxen             // 0000000058C8: E0502000 80052CE8
	buffer_load_dword v45, v233, s[20:23], 0 idxen             // 0000000058D0: E0502000 80052DE9
	buffer_load_dword v46, v234, s[20:23], 0 idxen             // 0000000058D8: E0502000 80052EEA
	buffer_load_dword v47, v235, s[20:23], 0 idxen             // 0000000058E0: E0502000 80052FEB
	buffer_load_dword v11, s[24:27], 0 idxen lds               // 0000000058E8: E0512000 8006000B
	s_add_u32 s60, 0x60, s59                                   // 0000000058F0: 803C3BFF 00000060
	s_cmp_lt_u32 s60, s58                                      // 0000000058F8: BF0A3A3C
	s_cselect_b32 s68, s68, 0                                  // 0000000058FC: 85448044
	s_cselect_b32 s100, s100, 0                                // 000000005900: 85648064
	s_cselect_b32 s69, s69, 0                                  // 000000005904: 85458045
	s_mov_b32 m0, s81                                          // 000000005908: BEFC0051
	v_add_u32_e32 v11, s69, v11                                // 00000000590C: 68161645
	v_add_u32_e32 v1, s68, v1                                  // 000000005910: 68020244
	v_add_u32_e32 v2, s68, v2                                  // 000000005914: 68040444
	;; [unrolled: 1-line block ×3, first 2 shown]
	v_add_u32_e32 v4, s68, v4                                  // 00000000591C: 68080844
	v_add_u32_e32 v232, s100, v232                             // 000000005920: 69D1D064
	v_add_u32_e32 v233, s100, v233                             // 000000005924: 69D3D264
	v_add_u32_e32 v234, s100, v234                             // 000000005928: 69D5D464
	v_add_u32_e32 v235, s100, v235                             // 00000000592C: 69D7D664
	v_mul_f32_e32 v140, s48, v140                              // 000000005930: 0B191830
	v_mul_f32_e32 v144, s48, v144                              // 000000005934: 0B212030
	v_perm_b32 v100, v41, v40, s63                             // 000000005938: D1ED0064 00FE5129
	v_perm_b32 v101, v41, v40, s64                             // 000000005940: D1ED0065 01025129
	v_perm_b32 v102, v43, v42, s63                             // 000000005948: D1ED0066 00FE552B
	v_perm_b32 v103, v43, v42, s64                             // 000000005950: D1ED0067 0102552B
	v_perm_b32 v104, v49, v48, s63                             // 000000005958: D1ED0068 00FE6131
	v_perm_b32 v105, v49, v48, s64                             // 000000005960: D1ED0069 01026131
	v_perm_b32 v106, v51, v50, s63                             // 000000005968: D1ED006A 00FE6533
	v_perm_b32 v107, v51, v50, s64                             // 000000005970: D1ED006B 01026533
	v_mov_b32_dpp v143, v140 quad_perm:[3,3,3,3] row_mask:0xf bank_mask:0xf// 000000005978: 7F1E02FA FF00FF8C
	v_mov_b32_dpp v142, v140 quad_perm:[2,2,2,2] row_mask:0xf bank_mask:0xf// 000000005980: 7F1C02FA FF00AA8C
	v_mov_b32_dpp v141, v140 quad_perm:[1,1,1,1] row_mask:0xf bank_mask:0xf// 000000005988: 7F1A02FA FF00558C
	v_mov_b32_dpp v140, v140 quad_perm:[0,0,0,0] row_mask:0xf bank_mask:0xf// 000000005990: 7F1802FA FF00008C
	v_mov_b32_dpp v147, v144 quad_perm:[3,3,3,3] row_mask:0xf bank_mask:0xf// 000000005998: 7F2602FA FF00FF90
	v_mov_b32_dpp v146, v144 quad_perm:[2,2,2,2] row_mask:0xf bank_mask:0xf// 0000000059A0: 7F2402FA FF00AA90
	v_mov_b32_dpp v145, v144 quad_perm:[1,1,1,1] row_mask:0xf bank_mask:0xf// 0000000059A8: 7F2202FA FF005590
	v_mov_b32_dpp v144, v144 quad_perm:[0,0,0,0] row_mask:0xf bank_mask:0xf// 0000000059B0: 7F2002FA FF000090
	s_waitcnt vmcnt(9)                                         // 0000000059B8: BF8C0F79
	s_barrier                                                  // 0000000059BC: BF8A0000
	s_cmp_lt_i32 s46, 2                                        // 0000000059C0: BF04822E
	s_cbranch_scc0 label_1052                                  // 0000000059C4: BF8409CE
	s_nop 0                                                    // 0000000059C8: BF800000
	s_nop 0                                                    // 0000000059CC: BF800000

00000000000059d0 <label_0674>:
	s_waitcnt lgkmcnt(4)                                       // 0000000059D0: BF8CC47F
	s_barrier                                                  // 0000000059D4: BF8A0000
	v_mfma_f32_16x16x16_bf16 v[52:55], a[96:97], a[0:1], 0     // 0000000059D8: D3E10034 1A020160
	ds_write_b32 v13, v48 offset:8704                          // 0000000059E0: D81A2200 0000300D
	ds_write_b32 v13, v49 offset:9760                          // 0000000059E8: D81A2620 0000310D
	v_mfma_f32_16x16x16_bf16 v[52:55], a[98:99], a[2:3], v[52:55]// 0000000059F0: D3E10034 1CD20562
	v_mul_f32_e32 v148, s47, v148                              // 0000000059F8: 0B29282F
	v_mul_f32_e32 v149, s47, v149                              // 0000000059FC: 0B2B2A2F
	v_mfma_f32_16x16x16_bf16 v[52:55], a[100:101], a[4:5], v[52:55]// 000000005A00: D3E10034 1CD20964
	ds_write_b32 v13, v50 offset:10880                         // 000000005A08: D81A2A80 0000320D
	ds_write_b32 v13, v51 offset:11936                         // 000000005A10: D81A2EA0 0000330D
	v_mfma_f32_16x16x16_bf16 v[52:55], a[102:103], a[6:7], v[52:55]// 000000005A18: D3E10034 1CD20D66
	v_mul_f32_e32 v150, s47, v150                              // 000000005A20: 0B2D2C2F
	v_mul_f32_e32 v151, s47, v151                              // 000000005A24: 0B2F2E2F
	v_mfma_f32_16x16x16_bf16 v[56:59], a[96:97], a[8:9], 0     // 000000005A28: D3E10038 1A021160
	ds_write_b64 v22, v[148:149] offset:31232                  // 000000005A30: D89A7A00 00009416
	v_mfma_f32_16x16x16_bf16 v[56:59], a[98:99], a[10:11], v[56:59]// 000000005A38: D3E10038 1CE21562
	v_mul_f32_e32 v152, s47, v152                              // 000000005A40: 0B31302F
	v_mul_f32_e32 v153, s47, v153                              // 000000005A44: 0B33322F
	v_mfma_f32_16x16x16_bf16 v[56:59], a[100:101], a[12:13], v[56:59]// 000000005A48: D3E10038 1CE21964
	ds_write_b64 v22, v[150:151] offset:31744                  // 000000005A50: D89A7C00 00009616
	v_mfma_f32_16x16x16_bf16 v[56:59], a[102:103], a[14:15], v[56:59]// 000000005A58: D3E10038 1CE21D66
	v_mul_f32_e32 v154, s47, v154                              // 000000005A60: 0B35342F
	v_mul_f32_e32 v155, s47, v155                              // 000000005A64: 0B37362F
	v_mfma_f32_16x16x16_bf16 v[60:63], a[96:97], a[16:17], 0   // 000000005A68: D3E1003C 1A022160
	ds_write_b64 v22, v[152:153] offset:32256                  // 000000005A70: D89A7E00 00009816
	v_mfma_f32_16x16x16_bf16 v[60:63], a[98:99], a[18:19], v[60:63]// 000000005A78: D3E1003C 1CF22562
	buffer_atomic_add_f32 v160, v8, s[32:35], 0 idxen          // 000000005A80: E1342000 8008A008
	v_mfma_f32_16x16x16_bf16 v[60:63], a[100:101], a[20:21], v[60:63]// 000000005A88: D3E1003C 1CF22964
	ds_write_b64 v22, v[154:155] offset:32768                  // 000000005A90: D89A8000 00009A16
	v_mfma_f32_16x16x16_bf16 v[60:63], a[102:103], a[22:23], v[60:63]// 000000005A98: D3E1003C 1CF22D66
	v_mfma_f32_16x16x16_bf16 v[64:67], a[104:105], a[0:1], 0   // 000000005AA0: D3E10040 1A020168
	ds_read_b128 v[124:127], v14 offset:13056                  // 000000005AA8: D9FE3300 7C00000E
	ds_write_b32 v13, v40                                      // 000000005AB0: D81A0000 0000280D
	v_mfma_f32_16x16x16_bf16 v[64:67], a[106:107], a[2:3], v[64:67]// 000000005AB8: D3E10040 1D02056A
	buffer_atomic_add_f32 v161, v9, s[32:35], 0 idxen          // 000000005AC0: E1342000 8008A109
	v_mfma_f32_16x16x16_bf16 v[64:67], a[108:109], a[4:5], v[64:67]// 000000005AC8: D3E10040 1D02096C
	v_mfma_f32_16x16x16_bf16 v[64:67], a[110:111], a[6:7], v[64:67]// 000000005AD0: D3E10040 1D020D6E
	ds_read_b128 v[128:131], v14 offset:13568                  // 000000005AD8: D9FE3500 8000000E
	ds_write_b32 v13, v41 offset:1056                          // 000000005AE0: D81A0420 0000290D
	v_mfma_f32_16x16x16_bf16 v[68:71], a[104:105], a[8:9], 0   // 000000005AE8: D3E10044 1A021168
	buffer_atomic_add_f32 v162, v8, s[32:35], 0 idxen offset:128// 000000005AF0: E1342080 8008A208
	v_mfma_f32_16x16x16_bf16 v[68:71], a[106:107], a[10:11], v[68:71]// 000000005AF8: D3E10044 1D12156A
	v_mfma_f32_16x16x16_bf16 v[68:71], a[108:109], a[12:13], v[68:71]// 000000005B00: D3E10044 1D12196C
	ds_read_b128 v[132:135], v14 offset:15232                  // 000000005B08: D9FE3B80 8400000E
	ds_write_b32 v13, v42 offset:2176                          // 000000005B10: D81A0880 00002A0D
	v_mfma_f32_16x16x16_bf16 v[68:71], a[110:111], a[14:15], v[68:71]// 000000005B18: D3E10044 1D121D6E
	v_mfma_f32_16x16x16_bf16 v[72:75], a[104:105], a[16:17], 0 // 000000005B20: D3E10048 1A022168
	buffer_atomic_add_f32 v163, v9, s[32:35], 0 idxen offset:128// 000000005B28: E1342080 8008A309
	v_mfma_f32_16x16x16_bf16 v[72:75], a[106:107], a[18:19], v[72:75]// 000000005B30: D3E10048 1D22256A
	ds_read_b128 v[136:139], v14 offset:15744                  // 000000005B38: D9FE3D80 8800000E
	ds_write_b32 v13, v43 offset:3232                          // 000000005B40: D81A0CA0 00002B0D
	v_mfma_f32_16x16x16_bf16 v[72:75], a[108:109], a[20:21], v[72:75]// 000000005B48: D3E10048 1D22296C
	v_mfma_f32_16x16x16_bf16 v[72:75], a[110:111], a[22:23], v[72:75]// 000000005B50: D3E10048 1D222D6E
	s_cmp_eq_i32 s82, 0                                        // 000000005B58: BF008052
	s_cbranch_scc1 label_07D1                                  // 000000005B5C: BF8500F0
	s_cmp_lt_i32 s74, 6                                        // 000000005B60: BF04864A
	s_cbranch_scc0 label_0758                                  // 000000005B64: BF84007E
	s_lshl_b32 s60, s74, 5                                     // 000000005B68: 8E3C854A
	s_lshl_b32 s61, 0, 4                                       // 000000005B6C: 8E3D8480
	s_add_i32 s60, s60, s61                                    // 000000005B70: 813C3D3C
	v_sub_i32 v32, v236, s60                                   // 000000005B74: D29D0020 000079EC
	s_mov_b32 s61, 0                                           // 000000005B7C: BEBD0080
	v_add_i32 v33, v32, s61                                    // 000000005B80: D29C0021 00007B20
	v_cmp_gt_i32_e64 s[60:61], v33, 0                          // 000000005B88: D0C4003C 00010121
	v_cmp_gt_i32_e64 s[70:71], v33, 1                          // 000000005B90: D0C40046 00010321
	v_cndmask_b32_e64 v52, v52, v178, s[60:61]                 // 000000005B98: D1000034 00F36534
	v_cndmask_b32_e64 v53, v53, v178, s[70:71]                 // 000000005BA0: D1000035 011B6535
	v_cmp_gt_i32_e64 s[60:61], v33, 2                          // 000000005BA8: D0C4003C 00010521
	v_cmp_gt_i32_e64 s[70:71], v33, 3                          // 000000005BB0: D0C40046 00010721
	v_cndmask_b32_e64 v54, v54, v178, s[60:61]                 // 000000005BB8: D1000036 00F36536
	v_cndmask_b32_e64 v55, v55, v178, s[70:71]                 // 000000005BC0: D1000037 011B6537
	s_mov_b32 s61, 64                                          // 000000005BC8: BEBD00C0
	v_add_i32 v33, v32, s61                                    // 000000005BCC: D29C0021 00007B20
	v_cmp_gt_i32_e64 s[60:61], v33, 0                          // 000000005BD4: D0C4003C 00010121
	v_cmp_gt_i32_e64 s[70:71], v33, 1                          // 000000005BDC: D0C40046 00010321
	v_cndmask_b32_e64 v56, v56, v178, s[60:61]                 // 000000005BE4: D1000038 00F36538
	v_cndmask_b32_e64 v57, v57, v178, s[70:71]                 // 000000005BEC: D1000039 011B6539
	v_cmp_gt_i32_e64 s[60:61], v33, 2                          // 000000005BF4: D0C4003C 00010521
	v_cmp_gt_i32_e64 s[70:71], v33, 3                          // 000000005BFC: D0C40046 00010721
	v_cndmask_b32_e64 v58, v58, v178, s[60:61]                 // 000000005C04: D100003A 00F3653A
	v_cndmask_b32_e64 v59, v59, v178, s[70:71]                 // 000000005C0C: D100003B 011B653B
	s_mov_b32 s61, 0x80                                        // 000000005C14: BEBD00FF 00000080
	v_add_i32 v33, v32, s61                                    // 000000005C1C: D29C0021 00007B20
	v_cmp_gt_i32_e64 s[60:61], v33, 0                          // 000000005C24: D0C4003C 00010121
	v_cmp_gt_i32_e64 s[70:71], v33, 1                          // 000000005C2C: D0C40046 00010321
	v_cndmask_b32_e64 v60, v60, v178, s[60:61]                 // 000000005C34: D100003C 00F3653C
	v_cndmask_b32_e64 v61, v61, v178, s[70:71]                 // 000000005C3C: D100003D 011B653D
	v_cmp_gt_i32_e64 s[60:61], v33, 2                          // 000000005C44: D0C4003C 00010521
	v_cmp_gt_i32_e64 s[70:71], v33, 3                          // 000000005C4C: D0C40046 00010721
	v_cndmask_b32_e64 v62, v62, v178, s[60:61]                 // 000000005C54: D100003E 00F3653E
	v_cndmask_b32_e64 v63, v63, v178, s[70:71]                 // 000000005C5C: D100003F 011B653F
	s_lshl_b32 s60, s74, 5                                     // 000000005C64: 8E3C854A
	s_lshl_b32 s61, 1, 4                                       // 000000005C68: 8E3D8481
	s_add_i32 s60, s60, s61                                    // 000000005C6C: 813C3D3C
	v_sub_i32 v32, v236, s60                                   // 000000005C70: D29D0020 000079EC
	s_mov_b32 s61, 0                                           // 000000005C78: BEBD0080
	v_add_i32 v33, v32, s61                                    // 000000005C7C: D29C0021 00007B20
	v_cmp_gt_i32_e64 s[60:61], v33, 0                          // 000000005C84: D0C4003C 00010121
	v_cmp_gt_i32_e64 s[70:71], v33, 1                          // 000000005C8C: D0C40046 00010321
	v_cndmask_b32_e64 v64, v64, v178, s[60:61]                 // 000000005C94: D1000040 00F36540
	v_cndmask_b32_e64 v65, v65, v178, s[70:71]                 // 000000005C9C: D1000041 011B6541
	v_cmp_gt_i32_e64 s[60:61], v33, 2                          // 000000005CA4: D0C4003C 00010521
	v_cmp_gt_i32_e64 s[70:71], v33, 3                          // 000000005CAC: D0C40046 00010721
	v_cndmask_b32_e64 v66, v66, v178, s[60:61]                 // 000000005CB4: D1000042 00F36542
	v_cndmask_b32_e64 v67, v67, v178, s[70:71]                 // 000000005CBC: D1000043 011B6543
	s_mov_b32 s61, 64                                          // 000000005CC4: BEBD00C0
	v_add_i32 v33, v32, s61                                    // 000000005CC8: D29C0021 00007B20
	v_cmp_gt_i32_e64 s[60:61], v33, 0                          // 000000005CD0: D0C4003C 00010121
	v_cmp_gt_i32_e64 s[70:71], v33, 1                          // 000000005CD8: D0C40046 00010321
	v_cndmask_b32_e64 v68, v68, v178, s[60:61]                 // 000000005CE0: D1000044 00F36544
	v_cndmask_b32_e64 v69, v69, v178, s[70:71]                 // 000000005CE8: D1000045 011B6545
	v_cmp_gt_i32_e64 s[60:61], v33, 2                          // 000000005CF0: D0C4003C 00010521
	v_cmp_gt_i32_e64 s[70:71], v33, 3                          // 000000005CF8: D0C40046 00010721
	v_cndmask_b32_e64 v70, v70, v178, s[60:61]                 // 000000005D00: D1000046 00F36546
	v_cndmask_b32_e64 v71, v71, v178, s[70:71]                 // 000000005D08: D1000047 011B6547
	s_mov_b32 s61, 0x80                                        // 000000005D10: BEBD00FF 00000080
	v_add_i32 v33, v32, s61                                    // 000000005D18: D29C0021 00007B20
	v_cmp_gt_i32_e64 s[60:61], v33, 0                          // 000000005D20: D0C4003C 00010121
	v_cmp_gt_i32_e64 s[70:71], v33, 1                          // 000000005D28: D0C40046 00010321
	v_cndmask_b32_e64 v72, v72, v178, s[60:61]                 // 000000005D30: D1000048 00F36548
	v_cndmask_b32_e64 v73, v73, v178, s[70:71]                 // 000000005D38: D1000049 011B6549
	v_cmp_gt_i32_e64 s[60:61], v33, 2                          // 000000005D40: D0C4003C 00010521
	v_cmp_gt_i32_e64 s[70:71], v33, 3                          // 000000005D48: D0C40046 00010721
	v_cndmask_b32_e64 v74, v74, v178, s[60:61]                 // 000000005D50: D100004A 00F3654A
	v_cndmask_b32_e64 v75, v75, v178, s[70:71]                 // 000000005D58: D100004B 011B654B

0000000000005d60 <label_0758>:
	s_cmp_lt_i32 s84, 0xc0                                     // 000000005D60: BF04FF54 000000C0
	s_cbranch_scc0 label_07D1                                  // 000000005D68: BF84006D
	s_cmp_le_i32 s84, 64                                       // 000000005D6C: BF05C054
	s_cbranch_scc1 label_0764                                  // 000000005D70: BF850007
	s_cmp_le_i32 s84, 0x80                                     // 000000005D74: BF05FF54 00000080
	s_cbranch_scc1 label_0788                                  // 000000005D7C: BF85001F
	s_cmp_lt_i32 s84, 0xc0                                     // 000000005D80: BF04FF54 000000C0
	s_cbranch_scc1 label_07AC                                  // 000000005D88: BF850040
	s_branch label_07D1                                        // 000000005D8C: BF820064

0000000000005d90 <label_0764>:
	s_mov_b32 s60, 0                                           // 000000005D90: BEBC0080
	v_and_b32_e32 v32, 15, v0                                  // 000000005D94: 2640008F
	v_add_u32_e64 v32, v32, s60                                // 000000005D98: D1340020 00007920
	v_mul_i32_i24_e64 v33, s46, 16                             // 000000005DA0: D1060021 0001202E
	v_add_u32_e32 v32, v32, v33                                // 000000005DA8: 68404320
	v_cmp_lt_u32_e64 s[60:61], v32, s84                        // 000000005DAC: D0C9003C 0000A920
	s_nop 1                                                    // 000000005DB4: BF800001
	v_cndmask_b32_e64 v52, v178, v52, s[60:61]                 // 000000005DB8: D1000034 00F269B2
	v_cndmask_b32_e64 v64, v178, v64, s[60:61]                 // 000000005DC0: D1000040 00F281B2
	v_cndmask_b32_e64 v53, v178, v53, s[60:61]                 // 000000005DC8: D1000035 00F26BB2
	v_cndmask_b32_e64 v65, v178, v65, s[60:61]                 // 000000005DD0: D1000041 00F283B2
	v_cndmask_b32_e64 v54, v178, v54, s[60:61]                 // 000000005DD8: D1000036 00F26DB2
	v_cndmask_b32_e64 v66, v178, v66, s[60:61]                 // 000000005DE0: D1000042 00F285B2
	v_cndmask_b32_e64 v55, v178, v55, s[60:61]                 // 000000005DE8: D1000037 00F26FB2
	v_cndmask_b32_e64 v67, v178, v67, s[60:61]                 // 000000005DF0: D1000043 00F287B2
	s_branch label_07A3                                        // 000000005DF8: BF82001B

0000000000005dfc <label_0788>:
	s_mov_b32 s60, 64                                          // 000000005DFC: BEBC00C0
	v_and_b32_e32 v32, 15, v0                                  // 000000005E00: 2640008F
	v_add_u32_e64 v32, v32, s60                                // 000000005E04: D1340020 00007920
	v_mul_i32_i24_e64 v33, s46, 16                             // 000000005E0C: D1060021 0001202E
	v_add_u32_e32 v32, v32, v33                                // 000000005E14: 68404320
	v_cmp_lt_u32_e64 s[60:61], v32, s84                        // 000000005E18: D0C9003C 0000A920
	s_nop 1                                                    // 000000005E20: BF800001
	v_cndmask_b32_e64 v56, v178, v56, s[60:61]                 // 000000005E24: D1000038 00F271B2
	v_cndmask_b32_e64 v68, v178, v68, s[60:61]                 // 000000005E2C: D1000044 00F289B2
	v_cndmask_b32_e64 v57, v178, v57, s[60:61]                 // 000000005E34: D1000039 00F273B2
	v_cndmask_b32_e64 v69, v178, v69, s[60:61]                 // 000000005E3C: D1000045 00F28BB2
	v_cndmask_b32_e64 v58, v178, v58, s[60:61]                 // 000000005E44: D100003A 00F275B2
	v_cndmask_b32_e64 v70, v178, v70, s[60:61]                 // 000000005E4C: D1000046 00F28DB2
	v_cndmask_b32_e64 v59, v178, v59, s[60:61]                 // 000000005E54: D100003B 00F277B2
	v_cndmask_b32_e64 v71, v178, v71, s[60:61]                 // 000000005E5C: D1000047 00F28FB2
	s_branch label_07C8                                        // 000000005E64: BF820025

0000000000005e68 <label_07A3>:
	v_mov_b32_e32 v56, v178                                    // 000000005E68: 7E7003B2
	v_mov_b32_e32 v68, v178                                    // 000000005E6C: 7E8803B2
	v_mov_b32_e32 v57, v178                                    // 000000005E70: 7E7203B2
	v_mov_b32_e32 v69, v178                                    // 000000005E74: 7E8A03B2
	v_mov_b32_e32 v58, v178                                    // 000000005E78: 7E7403B2
	v_mov_b32_e32 v70, v178                                    // 000000005E7C: 7E8C03B2
	v_mov_b32_e32 v59, v178                                    // 000000005E80: 7E7603B2
	v_mov_b32_e32 v71, v178                                    // 000000005E84: 7E8E03B2
	s_branch label_07C8                                        // 000000005E88: BF82001C

0000000000005e8c <label_07AC>:
	s_mov_b32 s60, 0x80                                        // 000000005E8C: BEBC00FF 00000080
	v_and_b32_e32 v32, 15, v0                                  // 000000005E94: 2640008F
	v_add_u32_e64 v32, v32, s60                                // 000000005E98: D1340020 00007920
	v_mul_i32_i24_e64 v33, s46, 16                             // 000000005EA0: D1060021 0001202E
	v_add_u32_e32 v32, v32, v33                                // 000000005EA8: 68404320
	v_cmp_lt_u32_e64 s[60:61], v32, s84                        // 000000005EAC: D0C9003C 0000A920
	s_nop 1                                                    // 000000005EB4: BF800001
	v_cndmask_b32_e64 v60, v178, v60, s[60:61]                 // 000000005EB8: D100003C 00F279B2
	v_cndmask_b32_e64 v72, v178, v72, s[60:61]                 // 000000005EC0: D1000048 00F291B2
	v_cndmask_b32_e64 v61, v178, v61, s[60:61]                 // 000000005EC8: D100003D 00F27BB2
	v_cndmask_b32_e64 v73, v178, v73, s[60:61]                 // 000000005ED0: D1000049 00F293B2
	v_cndmask_b32_e64 v62, v178, v62, s[60:61]                 // 000000005ED8: D100003E 00F27DB2
	v_cndmask_b32_e64 v74, v178, v74, s[60:61]                 // 000000005EE0: D100004A 00F295B2
	v_cndmask_b32_e64 v63, v178, v63, s[60:61]                 // 000000005EE8: D100003F 00F27FB2
	v_cndmask_b32_e64 v75, v178, v75, s[60:61]                 // 000000005EF0: D100004B 00F297B2
	s_branch label_07D1                                        // 000000005EF8: BF820009

0000000000005efc <label_07C8>:
	v_mov_b32_e32 v60, v178                                    // 000000005EFC: 7E7803B2
	v_mov_b32_e32 v72, v178                                    // 000000005F00: 7E9003B2
	v_mov_b32_e32 v61, v178                                    // 000000005F04: 7E7A03B2
	v_mov_b32_e32 v73, v178                                    // 000000005F08: 7E9203B2
	v_mov_b32_e32 v62, v178                                    // 000000005F0C: 7E7C03B2
	v_mov_b32_e32 v74, v178                                    // 000000005F10: 7E9403B2
	v_mov_b32_e32 v63, v178                                    // 000000005F14: 7E7E03B2
	v_mov_b32_e32 v75, v178                                    // 000000005F18: 7E9603B2
	s_branch label_07D1                                        // 000000005F1C: BF820000

0000000000005f20 <label_07D1>:
	s_addk_i32 s74, 0x1                                        // 000000005F20: B74A0001
	s_waitcnt lgkmcnt(8)                                       // 000000005F24: BF8CC87F
	s_barrier                                                  // 000000005F28: BF8A0000
	v_mfma_f32_16x16x16_bf16 v[76:79], v[108:109], a[72:73], 0 // 000000005F2C: D3E1004C 1202916C
	ds_read_b128 a[96:99], v14 offset:4352                     // 000000005F34: DBFE1100 6000000E
	ds_read_b128 a[100:103], v14 offset:4864                   // 000000005F3C: DBFE1300 6400000E
	v_mfma_f32_16x16x16_bf16 v[76:79], v[110:111], a[74:75], v[76:79]// 000000005F44: D3E1004C 1532956E
	v_fma_f32 v52, v52, s57, -v140                             // 000000005F4C: D1CB0034 86307334
	v_fma_f32 v53, v53, s57, -v141                             // 000000005F54: D1CB0035 86347335
	v_fma_f32 v54, v54, s57, -v142                             // 000000005F5C: D1CB0036 86387336
	v_fma_f32 v55, v55, s57, -v143                             // 000000005F64: D1CB0037 863C7337
	v_fma_f32 v56, v56, s57, -v140                             // 000000005F6C: D1CB0038 86307338
	v_fma_f32 v57, v57, s57, -v141                             // 000000005F74: D1CB0039 86347339
	v_mfma_f32_16x16x16_bf16 v[76:79], v[112:113], a[76:77], v[76:79]// 000000005F7C: D3E1004C 15329970
	v_fma_f32 v58, v58, s57, -v142                             // 000000005F84: D1CB003A 8638733A
	v_fma_f32 v59, v59, s57, -v143                             // 000000005F8C: D1CB003B 863C733B
	v_fma_f32 v60, v60, s57, -v140                             // 000000005F94: D1CB003C 8630733C
	v_fma_f32 v61, v61, s57, -v141                             // 000000005F9C: D1CB003D 8634733D
	v_fma_f32 v62, v62, s57, -v142                             // 000000005FA4: D1CB003E 8638733E
	v_fma_f32 v63, v63, s57, -v143                             // 000000005FAC: D1CB003F 863C733F
	v_mfma_f32_16x16x16_bf16 v[76:79], v[114:115], a[78:79], v[76:79]// 000000005FB4: D3E1004C 15329D72
	v_fma_f32 v64, v64, s57, -v144                             // 000000005FBC: D1CB0040 86407340
	v_fma_f32 v65, v65, s57, -v145                             // 000000005FC4: D1CB0041 86447341
	v_fma_f32 v66, v66, s57, -v146                             // 000000005FCC: D1CB0042 86487342
	v_fma_f32 v67, v67, s57, -v147                             // 000000005FD4: D1CB0043 864C7343
	v_fma_f32 v68, v68, s57, -v144                             // 000000005FDC: D1CB0044 86407344
	v_fma_f32 v69, v69, s57, -v145                             // 000000005FE4: D1CB0045 86447345
	v_mfma_f32_16x16x16_bf16 v[80:83], v[108:109], a[80:81], 0 // 000000005FEC: D3E10050 1202A16C
	ds_read_b128 a[104:107], v14 offset:6528                   // 000000005FF4: DBFE1980 6800000E
	ds_read_b128 a[108:111], v14 offset:7040                   // 000000005FFC: DBFE1B80 6C00000E
	v_mfma_f32_16x16x16_bf16 v[80:83], v[110:111], a[82:83], v[80:83]// 000000006004: D3E10050 1542A56E
	v_fma_f32 v70, v70, s57, -v146                             // 00000000600C: D1CB0046 86487346
	v_fma_f32 v71, v71, s57, -v147                             // 000000006014: D1CB0047 864C7347
	v_fma_f32 v72, v72, s57, -v144                             // 00000000601C: D1CB0048 86407348
	v_fma_f32 v73, v73, s57, -v145                             // 000000006024: D1CB0049 86447349
	v_fma_f32 v74, v74, s57, -v146                             // 00000000602C: D1CB004A 8648734A
	v_fma_f32 v75, v75, s57, -v147                             // 000000006034: D1CB004B 864C734B
	v_mfma_f32_16x16x16_bf16 v[80:83], v[112:113], a[84:85], v[80:83]// 00000000603C: D3E10050 1542A970
	v_exp_f32_e32 v52, v52                                     // 000000006044: 7E684134
	v_exp_f32_e32 v53, v53                                     // 000000006048: 7E6A4135
	v_mfma_f32_16x16x16_bf16 v[80:83], v[114:115], a[86:87], v[80:83]// 00000000604C: D3E10050 1542AD72
	v_exp_f32_e32 v54, v54                                     // 000000006054: 7E6C4136
	v_exp_f32_e32 v55, v55                                     // 000000006058: 7E6E4137
	v_mfma_f32_16x16x16_bf16 v[84:87], v[108:109], a[88:89], 0 // 00000000605C: D3E10054 1202B16C
	ds_read_b64 v[156:157], v21 offset:31232                   // 000000006064: D8EC7A00 9C000015
	ds_read_b64 v[158:159], v21 offset:33280                   // 00000000606C: D8EC8200 9E000015
	v_mfma_f32_16x16x16_bf16 v[84:87], v[110:111], a[90:91], v[84:87]// 000000006074: D3E10054 1552B56E
	v_exp_f32_e32 v56, v56                                     // 00000000607C: 7E704138
	v_exp_f32_e32 v57, v57                                     // 000000006080: 7E724139
	v_mfma_f32_16x16x16_bf16 v[84:87], v[112:113], a[92:93], v[84:87]// 000000006084: D3E10054 1552B970
	ds_read_b64 v[160:161], v21 offset:35328                   // 00000000608C: D8EC8A00 A0000015
	ds_read_b64 v[162:163], v21 offset:37376                   // 000000006094: D8EC9200 A2000015
	v_mfma_f32_16x16x16_bf16 v[84:87], v[114:115], a[94:95], v[84:87]// 00000000609C: D3E10054 1552BD72
	v_exp_f32_e32 v58, v58                                     // 0000000060A4: 7E74413A
	v_exp_f32_e32 v59, v59                                     // 0000000060A8: 7E76413B
	v_mfma_f32_16x16x16_bf16 v[88:91], v[116:117], a[72:73], 0 // 0000000060AC: D3E10058 12029174
	v_exp_f32_e32 v60, v60                                     // 0000000060B4: 7E78413C
	v_exp_f32_e32 v61, v61                                     // 0000000060B8: 7E7A413D
	v_mfma_f32_16x16x16_bf16 v[88:91], v[118:119], a[74:75], v[88:91]// 0000000060BC: D3E10058 15629576
	v_exp_f32_e32 v62, v62                                     // 0000000060C4: 7E7C413E
	v_exp_f32_e32 v63, v63                                     // 0000000060C8: 7E7E413F
	v_mfma_f32_16x16x16_bf16 v[88:91], v[120:121], a[76:77], v[88:91]// 0000000060CC: D3E10058 15629978
	v_exp_f32_e32 v64, v64                                     // 0000000060D4: 7E804140
	v_exp_f32_e32 v65, v65                                     // 0000000060D8: 7E824141
	v_mfma_f32_16x16x16_bf16 v[88:91], v[122:123], a[78:79], v[88:91]// 0000000060DC: D3E10058 15629D7A
	v_exp_f32_e32 v66, v66                                     // 0000000060E4: 7E844142
	v_exp_f32_e32 v67, v67                                     // 0000000060E8: 7E864143
	v_mfma_f32_16x16x16_bf16 v[92:95], v[116:117], a[80:81], 0 // 0000000060EC: D3E1005C 1202A174
	v_exp_f32_e32 v68, v68                                     // 0000000060F4: 7E884144
	v_exp_f32_e32 v69, v69                                     // 0000000060F8: 7E8A4145
	v_mfma_f32_16x16x16_bf16 v[92:95], v[118:119], a[82:83], v[92:95]// 0000000060FC: D3E1005C 1572A576
	v_exp_f32_e32 v70, v70                                     // 000000006104: 7E8C4146
	v_exp_f32_e32 v71, v71                                     // 000000006108: 7E8E4147
	v_mfma_f32_16x16x16_bf16 v[92:95], v[120:121], a[84:85], v[92:95]// 00000000610C: D3E1005C 1572A978
	v_exp_f32_e32 v72, v72                                     // 000000006114: 7E904148
	v_exp_f32_e32 v73, v73                                     // 000000006118: 7E924149
	v_mfma_f32_16x16x16_bf16 v[92:95], v[122:123], a[86:87], v[92:95]// 00000000611C: D3E1005C 1572AD7A
	v_exp_f32_e32 v74, v74                                     // 000000006124: 7E94414A
	v_exp_f32_e32 v75, v75                                     // 000000006128: 7E96414B
	v_mfma_f32_16x16x16_bf16 v[96:99], v[116:117], a[88:89], 0 // 00000000612C: D3E10060 1202B174
	v_cmp_u_f32_e64 s[78:79], v52, v52                         // 000000006134: D048004E 00026934
	v_add3_u32 v228, v52, v231, 1                              // 00000000613C: D1FF00E4 0207CF34
	v_cndmask_b32_e64 v32, v228, v230, s[78:79]                // 000000006144: D1000020 013BCDE4
	v_cmp_u_f32_e64 s[78:79], v53, v53                         // 00000000614C: D048004E 00026B35
	v_add3_u32 v228, v53, v231, 1                              // 000000006154: D1FF00E4 0207CF35
	v_cndmask_b32_e64 v33, v228, v230, s[78:79]                // 00000000615C: D1000021 013BCDE4
	v_perm_b32 v164, v33, v32, s64                             // 000000006164: D1ED00A4 01024121
	v_cmp_u_f32_e64 s[78:79], v54, v54                         // 00000000616C: D048004E 00026D36
	v_add3_u32 v228, v54, v231, 1                              // 000000006174: D1FF00E4 0207CF36
	v_cndmask_b32_e64 v32, v228, v230, s[78:79]                // 00000000617C: D1000020 013BCDE4
	v_cmp_u_f32_e64 s[78:79], v55, v55                         // 000000006184: D048004E 00026F37
	v_add3_u32 v228, v55, v231, 1                              // 00000000618C: D1FF00E4 0207CF37
	v_cndmask_b32_e64 v33, v228, v230, s[78:79]                // 000000006194: D1000021 013BCDE4
	v_perm_b32 v165, v33, v32, s64                             // 00000000619C: D1ED00A5 01024121
	v_cmp_u_f32_e64 s[78:79], v56, v56                         // 0000000061A4: D048004E 00027138
	v_add3_u32 v228, v56, v231, 1                              // 0000000061AC: D1FF00E4 0207CF38
	v_cndmask_b32_e64 v32, v228, v230, s[78:79]                // 0000000061B4: D1000020 013BCDE4
	v_cmp_u_f32_e64 s[78:79], v57, v57                         // 0000000061BC: D048004E 00027339
	v_add3_u32 v228, v57, v231, 1                              // 0000000061C4: D1FF00E4 0207CF39
	v_cndmask_b32_e64 v33, v228, v230, s[78:79]                // 0000000061CC: D1000021 013BCDE4
	v_perm_b32 v166, v33, v32, s64                             // 0000000061D4: D1ED00A6 01024121
	v_cmp_u_f32_e64 s[78:79], v58, v58                         // 0000000061DC: D048004E 0002753A
	v_add3_u32 v228, v58, v231, 1                              // 0000000061E4: D1FF00E4 0207CF3A
	v_cndmask_b32_e64 v32, v228, v230, s[78:79]                // 0000000061EC: D1000020 013BCDE4
	v_cmp_u_f32_e64 s[78:79], v59, v59                         // 0000000061F4: D048004E 0002773B
	v_add3_u32 v228, v59, v231, 1                              // 0000000061FC: D1FF00E4 0207CF3B
	v_cndmask_b32_e64 v33, v228, v230, s[78:79]                // 000000006204: D1000021 013BCDE4
	v_perm_b32 v167, v33, v32, s64                             // 00000000620C: D1ED00A7 01024121
	v_cmp_u_f32_e64 s[78:79], v60, v60                         // 000000006214: D048004E 0002793C
	v_add3_u32 v228, v60, v231, 1                              // 00000000621C: D1FF00E4 0207CF3C
	v_cndmask_b32_e64 v32, v228, v230, s[78:79]                // 000000006224: D1000020 013BCDE4
	v_cmp_u_f32_e64 s[78:79], v61, v61                         // 00000000622C: D048004E 00027B3D
	v_add3_u32 v228, v61, v231, 1                              // 000000006234: D1FF00E4 0207CF3D
	v_cndmask_b32_e64 v33, v228, v230, s[78:79]                // 00000000623C: D1000021 013BCDE4
	v_perm_b32 v168, v33, v32, s64                             // 000000006244: D1ED00A8 01024121
	v_cmp_u_f32_e64 s[78:79], v62, v62                         // 00000000624C: D048004E 00027D3E
	v_add3_u32 v228, v62, v231, 1                              // 000000006254: D1FF00E4 0207CF3E
	v_cndmask_b32_e64 v32, v228, v230, s[78:79]                // 00000000625C: D1000020 013BCDE4
	v_cmp_u_f32_e64 s[78:79], v63, v63                         // 000000006264: D048004E 00027F3F
	v_add3_u32 v228, v63, v231, 1                              // 00000000626C: D1FF00E4 0207CF3F
	v_cndmask_b32_e64 v33, v228, v230, s[78:79]                // 000000006274: D1000021 013BCDE4
	v_perm_b32 v169, v33, v32, s64                             // 00000000627C: D1ED00A9 01024121
	v_mfma_f32_16x16x16_bf16 v[96:99], v[118:119], a[90:91], v[96:99]// 000000006284: D3E10060 1582B576
	v_cmp_u_f32_e64 s[78:79], v64, v64                         // 00000000628C: D048004E 00028140
	v_add3_u32 v228, v64, v231, 1                              // 000000006294: D1FF00E4 0207CF40
	v_cndmask_b32_e64 v32, v228, v230, s[78:79]                // 00000000629C: D1000020 013BCDE4
	v_cmp_u_f32_e64 s[78:79], v65, v65                         // 0000000062A4: D048004E 00028341
	v_add3_u32 v228, v65, v231, 1                              // 0000000062AC: D1FF00E4 0207CF41
	v_cndmask_b32_e64 v33, v228, v230, s[78:79]                // 0000000062B4: D1000021 013BCDE4
	v_perm_b32 v170, v33, v32, s64                             // 0000000062BC: D1ED00AA 01024121
	v_cmp_u_f32_e64 s[78:79], v66, v66                         // 0000000062C4: D048004E 00028542
	v_add3_u32 v228, v66, v231, 1                              // 0000000062CC: D1FF00E4 0207CF42
	v_cndmask_b32_e64 v32, v228, v230, s[78:79]                // 0000000062D4: D1000020 013BCDE4
	v_cmp_u_f32_e64 s[78:79], v67, v67                         // 0000000062DC: D048004E 00028743
	v_add3_u32 v228, v67, v231, 1                              // 0000000062E4: D1FF00E4 0207CF43
	v_cndmask_b32_e64 v33, v228, v230, s[78:79]                // 0000000062EC: D1000021 013BCDE4
	v_perm_b32 v171, v33, v32, s64                             // 0000000062F4: D1ED00AB 01024121
	v_cmp_u_f32_e64 s[78:79], v68, v68                         // 0000000062FC: D048004E 00028944
	v_add3_u32 v228, v68, v231, 1                              // 000000006304: D1FF00E4 0207CF44
	v_cndmask_b32_e64 v32, v228, v230, s[78:79]                // 00000000630C: D1000020 013BCDE4
	v_cmp_u_f32_e64 s[78:79], v69, v69                         // 000000006314: D048004E 00028B45
	v_add3_u32 v228, v69, v231, 1                              // 00000000631C: D1FF00E4 0207CF45
	v_cndmask_b32_e64 v33, v228, v230, s[78:79]                // 000000006324: D1000021 013BCDE4
	v_perm_b32 v172, v33, v32, s64                             // 00000000632C: D1ED00AC 01024121
	v_cmp_u_f32_e64 s[78:79], v70, v70                         // 000000006334: D048004E 00028D46
	v_add3_u32 v228, v70, v231, 1                              // 00000000633C: D1FF00E4 0207CF46
	v_cndmask_b32_e64 v32, v228, v230, s[78:79]                // 000000006344: D1000020 013BCDE4
	v_cmp_u_f32_e64 s[78:79], v71, v71                         // 00000000634C: D048004E 00028F47
	v_add3_u32 v228, v71, v231, 1                              // 000000006354: D1FF00E4 0207CF47
	v_cndmask_b32_e64 v33, v228, v230, s[78:79]                // 00000000635C: D1000021 013BCDE4
	v_perm_b32 v173, v33, v32, s64                             // 000000006364: D1ED00AD 01024121
	v_cmp_u_f32_e64 s[78:79], v72, v72                         // 00000000636C: D048004E 00029148
	v_add3_u32 v228, v72, v231, 1                              // 000000006374: D1FF00E4 0207CF48
	v_cndmask_b32_e64 v32, v228, v230, s[78:79]                // 00000000637C: D1000020 013BCDE4
	v_cmp_u_f32_e64 s[78:79], v73, v73                         // 000000006384: D048004E 00029349
	v_add3_u32 v228, v73, v231, 1                              // 00000000638C: D1FF00E4 0207CF49
	v_cndmask_b32_e64 v33, v228, v230, s[78:79]                // 000000006394: D1000021 013BCDE4
	v_perm_b32 v174, v33, v32, s64                             // 00000000639C: D1ED00AE 01024121
	v_cmp_u_f32_e64 s[78:79], v74, v74                         // 0000000063A4: D048004E 0002954A
	v_add3_u32 v228, v74, v231, 1                              // 0000000063AC: D1FF00E4 0207CF4A
	v_cndmask_b32_e64 v32, v228, v230, s[78:79]                // 0000000063B4: D1000020 013BCDE4
	v_cmp_u_f32_e64 s[78:79], v75, v75                         // 0000000063BC: D048004E 0002974B
	v_add3_u32 v228, v75, v231, 1                              // 0000000063C4: D1FF00E4 0207CF4B
	v_cndmask_b32_e64 v33, v228, v230, s[78:79]                // 0000000063CC: D1000021 013BCDE4
	v_perm_b32 v175, v33, v32, s64                             // 0000000063D4: D1ED00AF 01024121
	v_mfma_f32_16x16x16_bf16 v[96:99], v[120:121], a[92:93], v[96:99]// 0000000063DC: D3E10060 1582B978
	v_add_u32_e32 v6, s66, v6                                  // 0000000063E4: 680C0C42
	v_add_u32_e32 v7, s66, v7                                  // 0000000063E8: 680E0E42
	v_add_u32_e32 v8, s66, v8                                  // 0000000063EC: 68101042
	v_add_u32_e32 v9, s66, v9                                  // 0000000063F0: 68121242
	v_mfma_f32_16x16x16_bf16 v[96:99], v[122:123], a[94:95], v[96:99]// 0000000063F4: D3E10060 1582BD7A
	s_waitcnt lgkmcnt(0)                                       // 0000000063FC: BF8CC07F
	s_barrier                                                  // 000000006400: BF8A0000
	v_mfma_f32_16x16x16_bf16 v[180:183], v[124:125], v[164:165], v[180:183]// 000000006404: D3E100B4 06D3497C
	v_subrev_f32_dpp v76, v176, v76 quad_perm:[0,0,0,0] row_mask:0xf bank_mask:0xf// 00000000640C: 069898FA FF0000B0
	v_subrev_f32_dpp v77, v176, v77 quad_perm:[1,1,1,1] row_mask:0xf bank_mask:0xf// 000000006414: 069A9AFA FF0055B0
	v_subrev_f32_dpp v78, v176, v78 quad_perm:[2,2,2,2] row_mask:0xf bank_mask:0xf// 00000000641C: 069C9CFA FF00AAB0
	v_subrev_f32_dpp v79, v176, v79 quad_perm:[3,3,3,3] row_mask:0xf bank_mask:0xf// 000000006424: 069E9EFA FF00FFB0
	v_subrev_f32_dpp v80, v176, v80 quad_perm:[0,0,0,0] row_mask:0xf bank_mask:0xf// 00000000642C: 06A0A0FA FF0000B0
	v_subrev_f32_dpp v81, v176, v81 quad_perm:[1,1,1,1] row_mask:0xf bank_mask:0xf// 000000006434: 06A2A2FA FF0055B0
	v_mfma_f32_16x16x16_bf16 v[184:187], v[126:127], v[164:165], v[184:187]// 00000000643C: D3E100B8 06E3497E
	v_subrev_f32_dpp v82, v176, v82 quad_perm:[2,2,2,2] row_mask:0xf bank_mask:0xf// 000000006444: 06A4A4FA FF00AAB0
	v_subrev_f32_dpp v83, v176, v83 quad_perm:[3,3,3,3] row_mask:0xf bank_mask:0xf// 00000000644C: 06A6A6FA FF00FFB0
	v_subrev_f32_dpp v84, v176, v84 quad_perm:[0,0,0,0] row_mask:0xf bank_mask:0xf// 000000006454: 06A8A8FA FF0000B0
	v_subrev_f32_dpp v85, v176, v85 quad_perm:[1,1,1,1] row_mask:0xf bank_mask:0xf// 00000000645C: 06AAAAFA FF0055B0
	v_subrev_f32_dpp v86, v176, v86 quad_perm:[2,2,2,2] row_mask:0xf bank_mask:0xf// 000000006464: 06ACACFA FF00AAB0
	v_subrev_f32_dpp v87, v176, v87 quad_perm:[3,3,3,3] row_mask:0xf bank_mask:0xf// 00000000646C: 06AEAEFA FF00FFB0
	v_mfma_f32_16x16x16_bf16 v[188:191], v[128:129], v[164:165], v[188:191]// 000000006474: D3E100BC 06F34980
	v_mul_f32_e32 v76, v52, v76                                // 00000000647C: 0A989934
	v_mul_f32_e32 v77, v53, v77                                // 000000006480: 0A9A9B35
	v_mul_f32_e32 v78, v54, v78                                // 000000006484: 0A9C9D36
	v_mul_f32_e32 v79, v55, v79                                // 000000006488: 0A9E9F37
	v_mul_f32_e32 v80, v56, v80                                // 00000000648C: 0AA0A138
	v_mul_f32_e32 v81, v57, v81                                // 000000006490: 0AA2A339
	v_mfma_f32_16x16x16_bf16 v[192:195], v[130:131], v[164:165], v[192:195]// 000000006494: D3E100C0 07034982
	v_mul_f32_e32 v82, v58, v82                                // 00000000649C: 0AA4A53A
	v_mul_f32_e32 v83, v59, v83                                // 0000000064A0: 0AA6A73B
	v_mul_f32_e32 v84, v60, v84                                // 0000000064A4: 0AA8A93C
	v_mul_f32_e32 v85, v61, v85                                // 0000000064A8: 0AAAAB3D
	v_mul_f32_e32 v86, v62, v86                                // 0000000064AC: 0AACAD3E
	v_mul_f32_e32 v87, v63, v87                                // 0000000064B0: 0AAEAF3F
	v_mfma_f32_16x16x16_bf16 v[196:199], v[124:125], v[166:167], v[196:199]// 0000000064B4: D3E100C4 07134D7C
	v_cmp_u_f32_e64 s[78:79], v76, v76                         // 0000000064BC: D048004E 0002994C
	v_add3_u32 v228, v76, v231, 1                              // 0000000064C4: D1FF00E4 0207CF4C
	v_cndmask_b32_e64 v32, v228, v230, s[78:79]                // 0000000064CC: D1000020 013BCDE4
	v_cmp_u_f32_e64 s[78:79], v77, v77                         // 0000000064D4: D048004E 00029B4D
	v_add3_u32 v228, v77, v231, 1                              // 0000000064DC: D1FF00E4 0207CF4D
	v_cndmask_b32_e64 v33, v228, v230, s[78:79]                // 0000000064E4: D1000021 013BCDE4
	v_perm_b32 v76, v33, v32, s64                              // 0000000064EC: D1ED004C 01024121
	v_cmp_u_f32_e64 s[78:79], v78, v78                         // 0000000064F4: D048004E 00029D4E
	v_add3_u32 v228, v78, v231, 1                              // 0000000064FC: D1FF00E4 0207CF4E
	v_cndmask_b32_e64 v32, v228, v230, s[78:79]                // 000000006504: D1000020 013BCDE4
	v_cmp_u_f32_e64 s[78:79], v79, v79                         // 00000000650C: D048004E 00029F4F
	v_add3_u32 v228, v79, v231, 1                              // 000000006514: D1FF00E4 0207CF4F
	v_cndmask_b32_e64 v33, v228, v230, s[78:79]                // 00000000651C: D1000021 013BCDE4
	v_perm_b32 v77, v33, v32, s64                              // 000000006524: D1ED004D 01024121
	v_cmp_u_f32_e64 s[78:79], v80, v80                         // 00000000652C: D048004E 0002A150
	v_add3_u32 v228, v80, v231, 1                              // 000000006534: D1FF00E4 0207CF50
	v_cndmask_b32_e64 v32, v228, v230, s[78:79]                // 00000000653C: D1000020 013BCDE4
	v_cmp_u_f32_e64 s[78:79], v81, v81                         // 000000006544: D048004E 0002A351
	v_add3_u32 v228, v81, v231, 1                              // 00000000654C: D1FF00E4 0207CF51
	v_cndmask_b32_e64 v33, v228, v230, s[78:79]                // 000000006554: D1000021 013BCDE4
	v_perm_b32 v78, v33, v32, s64                              // 00000000655C: D1ED004E 01024121
	v_cmp_u_f32_e64 s[78:79], v82, v82                         // 000000006564: D048004E 0002A552
	v_add3_u32 v228, v82, v231, 1                              // 00000000656C: D1FF00E4 0207CF52
	v_cndmask_b32_e64 v32, v228, v230, s[78:79]                // 000000006574: D1000020 013BCDE4
	v_cmp_u_f32_e64 s[78:79], v83, v83                         // 00000000657C: D048004E 0002A753
	v_add3_u32 v228, v83, v231, 1                              // 000000006584: D1FF00E4 0207CF53
	v_cndmask_b32_e64 v33, v228, v230, s[78:79]                // 00000000658C: D1000021 013BCDE4
	v_perm_b32 v79, v33, v32, s64                              // 000000006594: D1ED004F 01024121
	v_cmp_u_f32_e64 s[78:79], v84, v84                         // 00000000659C: D048004E 0002A954
	v_add3_u32 v228, v84, v231, 1                              // 0000000065A4: D1FF00E4 0207CF54
	v_cndmask_b32_e64 v32, v228, v230, s[78:79]                // 0000000065AC: D1000020 013BCDE4
	v_cmp_u_f32_e64 s[78:79], v85, v85                         // 0000000065B4: D048004E 0002AB55
	v_add3_u32 v228, v85, v231, 1                              // 0000000065BC: D1FF00E4 0207CF55
	v_cndmask_b32_e64 v33, v228, v230, s[78:79]                // 0000000065C4: D1000021 013BCDE4
	v_perm_b32 v80, v33, v32, s64                              // 0000000065CC: D1ED0050 01024121
	v_cmp_u_f32_e64 s[78:79], v86, v86                         // 0000000065D4: D048004E 0002AD56
	v_add3_u32 v228, v86, v231, 1                              // 0000000065DC: D1FF00E4 0207CF56
	v_cndmask_b32_e64 v32, v228, v230, s[78:79]                // 0000000065E4: D1000020 013BCDE4
	v_cmp_u_f32_e64 s[78:79], v87, v87                         // 0000000065EC: D048004E 0002AF57
	v_add3_u32 v228, v87, v231, 1                              // 0000000065F4: D1FF00E4 0207CF57
	v_cndmask_b32_e64 v33, v228, v230, s[78:79]                // 0000000065FC: D1000021 013BCDE4
	v_perm_b32 v81, v33, v32, s64                              // 000000006604: D1ED0051 01024121
	v_mfma_f32_16x16x16_bf16 v[200:203], v[126:127], v[166:167], v[200:203]// 00000000660C: D3E100C8 07234D7E
	v_mov_b32_dpp v18, v76 quad_perm:[1,0,3,2] row_mask:0xf bank_mask:0xf// 000000006614: 7E2402FA FF00B14C
	v_perm_b32 v52, v18, v76, v17                              // 00000000661C: D1ED0034 04469912
	v_mov_b32_dpp v18, v77 quad_perm:[1,0,3,2] row_mask:0xf bank_mask:0xf// 000000006624: 7E2402FA FF00B14D
	v_perm_b32 v53, v18, v77, v17                              // 00000000662C: D1ED0035 04469B12
	v_mov_b32_dpp v18, v78 quad_perm:[1,0,3,2] row_mask:0xf bank_mask:0xf// 000000006634: 7E2402FA FF00B14E
	v_perm_b32 v54, v18, v78, v17                              // 00000000663C: D1ED0036 04469D12
	v_mfma_f32_16x16x16_bf16 v[204:207], v[128:129], v[166:167], v[204:207]// 000000006644: D3E100CC 07334D80
	v_mov_b32_dpp v18, v79 quad_perm:[1,0,3,2] row_mask:0xf bank_mask:0xf// 00000000664C: 7E2402FA FF00B14F
	v_perm_b32 v55, v18, v79, v17                              // 000000006654: D1ED0037 04469F12
	v_mov_b32_dpp v18, v80 quad_perm:[1,0,3,2] row_mask:0xf bank_mask:0xf// 00000000665C: 7E2402FA FF00B150
	v_perm_b32 v56, v18, v80, v17                              // 000000006664: D1ED0038 0446A112
	v_mov_b32_dpp v18, v81 quad_perm:[1,0,3,2] row_mask:0xf bank_mask:0xf// 00000000666C: 7E2402FA FF00B151
	v_perm_b32 v57, v18, v81, v17                              // 000000006674: D1ED0039 0446A312
	v_mfma_f32_16x16x16_bf16 v[208:211], v[130:131], v[166:167], v[208:211]// 00000000667C: D3E100D0 07434D82
	ds_write_b32 v20, v52 offset:17408                         // 000000006684: D81A4400 00003414
	ds_write_b32 v20, v53 offset:17952                         // 00000000668C: D81A4620 00003514
	v_mfma_f32_16x16x16_bf16 v[212:215], v[124:125], v[168:169], v[212:215]// 000000006694: D3E100D4 0753517C
	v_subrev_f32_dpp v88, v177, v88 quad_perm:[0,0,0,0] row_mask:0xf bank_mask:0xf// 00000000669C: 06B0B0FA FF0000B1
	v_subrev_f32_dpp v89, v177, v89 quad_perm:[1,1,1,1] row_mask:0xf bank_mask:0xf// 0000000066A4: 06B2B2FA FF0055B1
	v_subrev_f32_dpp v90, v177, v90 quad_perm:[2,2,2,2] row_mask:0xf bank_mask:0xf// 0000000066AC: 06B4B4FA FF00AAB1
	v_subrev_f32_dpp v91, v177, v91 quad_perm:[3,3,3,3] row_mask:0xf bank_mask:0xf// 0000000066B4: 06B6B6FA FF00FFB1
	v_subrev_f32_dpp v92, v177, v92 quad_perm:[0,0,0,0] row_mask:0xf bank_mask:0xf// 0000000066BC: 06B8B8FA FF0000B1
	v_subrev_f32_dpp v93, v177, v93 quad_perm:[1,1,1,1] row_mask:0xf bank_mask:0xf// 0000000066C4: 06BABAFA FF0055B1
	v_mfma_f32_16x16x16_bf16 v[216:219], v[126:127], v[168:169], v[216:219]// 0000000066CC: D3E100D8 0763517E
	ds_write_b32 v20, v54 offset:19712                         // 0000000066D4: D81A4D00 00003614
	ds_write_b32 v20, v55 offset:20256                         // 0000000066DC: D81A4F20 00003714
	v_mfma_f32_16x16x16_bf16 v[220:223], v[128:129], v[168:169], v[220:223]// 0000000066E4: D3E100DC 07735180
	v_subrev_f32_dpp v94, v177, v94 quad_perm:[2,2,2,2] row_mask:0xf bank_mask:0xf// 0000000066EC: 06BCBCFA FF00AAB1
	v_subrev_f32_dpp v95, v177, v95 quad_perm:[3,3,3,3] row_mask:0xf bank_mask:0xf// 0000000066F4: 06BEBEFA FF00FFB1
	v_subrev_f32_dpp v96, v177, v96 quad_perm:[0,0,0,0] row_mask:0xf bank_mask:0xf// 0000000066FC: 06C0C0FA FF0000B1
	v_subrev_f32_dpp v97, v177, v97 quad_perm:[1,1,1,1] row_mask:0xf bank_mask:0xf// 000000006704: 06C2C2FA FF0055B1
	v_subrev_f32_dpp v98, v177, v98 quad_perm:[2,2,2,2] row_mask:0xf bank_mask:0xf// 00000000670C: 06C4C4FA FF00AAB1
	v_subrev_f32_dpp v99, v177, v99 quad_perm:[3,3,3,3] row_mask:0xf bank_mask:0xf// 000000006714: 06C6C6FA FF00FFB1
	v_mfma_f32_16x16x16_bf16 v[224:227], v[130:131], v[168:169], v[224:227]// 00000000671C: D3E100E0 07835182
	ds_write_b32 v20, v56 offset:22016                         // 000000006724: D81A5600 00003814
	ds_write_b32 v20, v57 offset:22560                         // 00000000672C: D81A5820 00003914
	v_mfma_f32_16x16x16_bf16 v[180:183], v[132:133], v[170:171], v[180:183]// 000000006734: D3E100B4 06D35584
	v_mul_f32_e32 v88, v64, v88                                // 00000000673C: 0AB0B140
	v_mul_f32_e32 v89, v65, v89                                // 000000006740: 0AB2B341
	v_mul_f32_e32 v90, v66, v90                                // 000000006744: 0AB4B542
	v_mul_f32_e32 v91, v67, v91                                // 000000006748: 0AB6B743
	v_mul_f32_e32 v92, v68, v92                                // 00000000674C: 0AB8B944
	v_mul_f32_e32 v93, v69, v93                                // 000000006750: 0ABABB45
	v_mfma_f32_16x16x16_bf16 v[184:187], v[134:135], v[170:171], v[184:187]// 000000006754: D3E100B8 06E35586
	v_mul_f32_e32 v94, v70, v94                                // 00000000675C: 0ABCBD46
	v_mul_f32_e32 v95, v71, v95                                // 000000006760: 0ABEBF47
	v_mul_f32_e32 v96, v72, v96                                // 000000006764: 0AC0C148
	v_mul_f32_e32 v97, v73, v97                                // 000000006768: 0AC2C349
	v_mul_f32_e32 v98, v74, v98                                // 00000000676C: 0AC4C54A
	v_mul_f32_e32 v99, v75, v99                                // 000000006770: 0AC6C74B
	v_mfma_f32_16x16x16_bf16 v[188:191], v[136:137], v[170:171], v[188:191]// 000000006774: D3E100BC 06F35588
	v_cmp_u_f32_e64 s[78:79], v88, v88                         // 00000000677C: D048004E 0002B158
	v_add3_u32 v228, v88, v231, 1                              // 000000006784: D1FF00E4 0207CF58
	v_cndmask_b32_e64 v32, v228, v230, s[78:79]                // 00000000678C: D1000020 013BCDE4
	v_cmp_u_f32_e64 s[78:79], v89, v89                         // 000000006794: D048004E 0002B359
	v_add3_u32 v228, v89, v231, 1                              // 00000000679C: D1FF00E4 0207CF59
	v_cndmask_b32_e64 v33, v228, v230, s[78:79]                // 0000000067A4: D1000021 013BCDE4
	v_perm_b32 v82, v33, v32, s64                              // 0000000067AC: D1ED0052 01024121
	v_cmp_u_f32_e64 s[78:79], v90, v90                         // 0000000067B4: D048004E 0002B55A
	v_add3_u32 v228, v90, v231, 1                              // 0000000067BC: D1FF00E4 0207CF5A
	v_cndmask_b32_e64 v32, v228, v230, s[78:79]                // 0000000067C4: D1000020 013BCDE4
	v_cmp_u_f32_e64 s[78:79], v91, v91                         // 0000000067CC: D048004E 0002B75B
	v_add3_u32 v228, v91, v231, 1                              // 0000000067D4: D1FF00E4 0207CF5B
	v_cndmask_b32_e64 v33, v228, v230, s[78:79]                // 0000000067DC: D1000021 013BCDE4
	v_perm_b32 v83, v33, v32, s64                              // 0000000067E4: D1ED0053 01024121
	v_cmp_u_f32_e64 s[78:79], v92, v92                         // 0000000067EC: D048004E 0002B95C
	v_add3_u32 v228, v92, v231, 1                              // 0000000067F4: D1FF00E4 0207CF5C
	v_cndmask_b32_e64 v32, v228, v230, s[78:79]                // 0000000067FC: D1000020 013BCDE4
	v_cmp_u_f32_e64 s[78:79], v93, v93                         // 000000006804: D048004E 0002BB5D
	v_add3_u32 v228, v93, v231, 1                              // 00000000680C: D1FF00E4 0207CF5D
	v_cndmask_b32_e64 v33, v228, v230, s[78:79]                // 000000006814: D1000021 013BCDE4
	v_perm_b32 v84, v33, v32, s64                              // 00000000681C: D1ED0054 01024121
	v_cmp_u_f32_e64 s[78:79], v94, v94                         // 000000006824: D048004E 0002BD5E
	v_add3_u32 v228, v94, v231, 1                              // 00000000682C: D1FF00E4 0207CF5E
	v_cndmask_b32_e64 v32, v228, v230, s[78:79]                // 000000006834: D1000020 013BCDE4
	v_cmp_u_f32_e64 s[78:79], v95, v95                         // 00000000683C: D048004E 0002BF5F
	v_add3_u32 v228, v95, v231, 1                              // 000000006844: D1FF00E4 0207CF5F
	v_cndmask_b32_e64 v33, v228, v230, s[78:79]                // 00000000684C: D1000021 013BCDE4
	v_perm_b32 v85, v33, v32, s64                              // 000000006854: D1ED0055 01024121
	v_cmp_u_f32_e64 s[78:79], v96, v96                         // 00000000685C: D048004E 0002C160
	v_add3_u32 v228, v96, v231, 1                              // 000000006864: D1FF00E4 0207CF60
	v_cndmask_b32_e64 v32, v228, v230, s[78:79]                // 00000000686C: D1000020 013BCDE4
	v_cmp_u_f32_e64 s[78:79], v97, v97                         // 000000006874: D048004E 0002C361
	v_add3_u32 v228, v97, v231, 1                              // 00000000687C: D1FF00E4 0207CF61
	v_cndmask_b32_e64 v33, v228, v230, s[78:79]                // 000000006884: D1000021 013BCDE4
	v_perm_b32 v86, v33, v32, s64                              // 00000000688C: D1ED0056 01024121
	v_cmp_u_f32_e64 s[78:79], v98, v98                         // 000000006894: D048004E 0002C562
	v_add3_u32 v228, v98, v231, 1                              // 00000000689C: D1FF00E4 0207CF62
	v_cndmask_b32_e64 v32, v228, v230, s[78:79]                // 0000000068A4: D1000020 013BCDE4
	v_cmp_u_f32_e64 s[78:79], v99, v99                         // 0000000068AC: D048004E 0002C763
	v_add3_u32 v228, v99, v231, 1                              // 0000000068B4: D1FF00E4 0207CF63
	v_cndmask_b32_e64 v33, v228, v230, s[78:79]                // 0000000068BC: D1000021 013BCDE4
	v_perm_b32 v87, v33, v32, s64                              // 0000000068C4: D1ED0057 01024121
	v_mfma_f32_16x16x16_bf16 v[192:195], v[138:139], v[170:171], v[192:195]// 0000000068CC: D3E100C0 0703558A
	v_mov_b32_dpp v18, v82 quad_perm:[1,0,3,2] row_mask:0xf bank_mask:0xf// 0000000068D4: 7E2402FA FF00B152
	v_perm_b32 v58, v18, v82, v17                              // 0000000068DC: D1ED003A 0446A512
	v_mov_b32_dpp v18, v83 quad_perm:[1,0,3,2] row_mask:0xf bank_mask:0xf// 0000000068E4: 7E2402FA FF00B153
	v_perm_b32 v59, v18, v83, v17                              // 0000000068EC: D1ED003B 0446A712
	v_mov_b32_dpp v18, v84 quad_perm:[1,0,3,2] row_mask:0xf bank_mask:0xf// 0000000068F4: 7E2402FA FF00B154
	v_perm_b32 v60, v18, v84, v17                              // 0000000068FC: D1ED003C 0446A912
	v_mfma_f32_16x16x16_bf16 v[196:199], v[132:133], v[172:173], v[196:199]// 000000006904: D3E100C4 07135984
	v_mov_b32_dpp v18, v85 quad_perm:[1,0,3,2] row_mask:0xf bank_mask:0xf// 00000000690C: 7E2402FA FF00B155
	v_perm_b32 v61, v18, v85, v17                              // 000000006914: D1ED003D 0446AB12
	v_mov_b32_dpp v18, v86 quad_perm:[1,0,3,2] row_mask:0xf bank_mask:0xf// 00000000691C: 7E2402FA FF00B156
	v_perm_b32 v62, v18, v86, v17                              // 000000006924: D1ED003E 0446AD12
	v_mov_b32_dpp v18, v87 quad_perm:[1,0,3,2] row_mask:0xf bank_mask:0xf// 00000000692C: 7E2402FA FF00B157
	v_perm_b32 v63, v18, v87, v17                              // 000000006934: D1ED003F 0446AF12
	v_mfma_f32_16x16x16_bf16 v[200:203], v[134:135], v[172:173], v[200:203]// 00000000693C: D3E100C8 07235986
	ds_write_b32 v20, v58 offset:24320                         // 000000006944: D81A5F00 00003A14
	ds_write_b32 v20, v59 offset:24864                         // 00000000694C: D81A6120 00003B14
	v_mfma_f32_16x16x16_bf16 v[204:207], v[136:137], v[172:173], v[204:207]// 000000006954: D3E100CC 07335988
	v_mfma_f32_16x16x16_bf16 v[208:211], v[138:139], v[172:173], v[208:211]// 00000000695C: D3E100D0 0743598A
	ds_write_b32 v20, v60 offset:26624                         // 000000006964: D81A6800 00003C14
	ds_write_b32 v20, v61 offset:27168                         // 00000000696C: D81A6A20 00003D14
	ds_write_b32 v20, v62 offset:28928                         // 000000006974: D81A7100 00003E14
	ds_write_b32 v20, v63 offset:29472                         // 00000000697C: D81A7320 00003F14
	v_mfma_f32_16x16x16_bf16 v[212:215], v[132:133], v[174:175], v[212:215]// 000000006984: D3E100D4 07535D84
	v_mfma_f32_16x16x16_bf16 v[216:219], v[134:135], v[174:175], v[216:219]// 00000000698C: D3E100D8 07635D86
	ds_write_b32 v15, v100 offset:4352                         // 000000006994: D81A1100 0000640F
	ds_write_b32 v15, v101 offset:5408                         // 00000000699C: D81A1520 0000650F
	v_mfma_f32_16x16x16_bf16 v[220:223], v[136:137], v[174:175], v[220:223]// 0000000069A4: D3E100DC 07735D88
	s_nop 0                                                    // 0000000069AC: BF800000
	s_nop 0                                                    // 0000000069B0: BF800000
	s_nop 0                                                    // 0000000069B4: BF800000
	v_mfma_f32_16x16x16_bf16 v[224:227], v[138:139], v[174:175], v[224:227]// 0000000069B8: D3E100E0 07835D8A
	ds_write_b32 v15, v102 offset:6528                         // 0000000069C0: D81A1980 0000660F
	ds_write_b32 v15, v103 offset:7584                         // 0000000069C8: D81A1DA0 0000670F
	s_barrier                                                  // 0000000069D0: BF8A0000
	v_mfma_f32_16x16x16_bf16 a[112:115], a[96:97], v[76:77], a[112:115]// 0000000069D4: D3E18070 0DC29960
	buffer_atomic_add_f32 v156, v6, s[32:35], 0 idxen          // 0000000069DC: E1342000 80089C06
	v_mfma_f32_16x16x16_bf16 a[116:119], a[98:99], v[76:77], a[116:119]// 0000000069E4: D3E18074 0DD29962
	ds_read_b32 v140, v23 offset:39936                         // 0000000069EC: D86C9C00 8C000017
	ds_read_b32 v144, v23 offset:40000                         // 0000000069F4: D86C9C40 90000017
	ds_read_b32 v176, v23 offset:40192                         // 0000000069FC: D86C9D00 B0000017
	ds_read_b32 v177, v23 offset:40256                         // 000000006A04: D86C9D40 B1000017
	v_mfma_f32_16x16x16_bf16 a[120:123], a[100:101], v[76:77], a[120:123]// 000000006A0C: D3E18078 0DE29964
	s_waitcnt lgkmcnt(8)                                       // 000000006A14: BF8CC87F
	s_barrier                                                  // 000000006A18: BF8A0000
	v_mfma_f32_16x16x16_bf16 a[124:127], a[102:103], v[76:77], a[124:127]// 000000006A1C: D3E1807C 0DF29966
	ds_read_b128 v[52:55], v19 offset:17408                    // 000000006A24: D9FE4400 34000013
	v_mfma_f32_16x16x16_bf16 a[128:131], a[96:97], v[78:79], a[128:131]// 000000006A2C: D3E18080 0E029D60
	v_mfma_f32_16x16x16_bf16 a[132:135], a[98:99], v[78:79], a[132:135]// 000000006A34: D3E18084 0E129D62
	ds_read_b128 v[56:59], v19 offset:18560                    // 000000006A3C: D9FE4880 38000013
	v_mfma_f32_16x16x16_bf16 a[136:139], a[100:101], v[78:79], a[136:139]// 000000006A44: D3E18088 0E229D64
	buffer_atomic_add_f32 v157, v7, s[32:35], 0 idxen          // 000000006A4C: E1342000 80089D07
	v_mfma_f32_16x16x16_bf16 a[140:143], a[102:103], v[78:79], a[140:143]// 000000006A54: D3E1808C 0E329D66
	ds_read_b128 v[60:63], v19 offset:19712                    // 000000006A5C: D9FE4D00 3C000013
	v_mfma_f32_16x16x16_bf16 a[144:147], a[96:97], v[80:81], a[144:147]// 000000006A64: D3E18090 0E42A160
	v_mfma_f32_16x16x16_bf16 a[148:151], a[98:99], v[80:81], a[148:151]// 000000006A6C: D3E18094 0E52A162
	ds_read_b128 v[64:67], v19 offset:20864                    // 000000006A74: D9FE5180 40000013
	v_mfma_f32_16x16x16_bf16 a[152:155], a[100:101], v[80:81], a[152:155]// 000000006A7C: D3E18098 0E62A164
	v_mfma_f32_16x16x16_bf16 a[156:159], a[102:103], v[80:81], a[156:159]// 000000006A84: D3E1809C 0E72A166
	ds_read_b128 v[68:71], v19 offset:22016                    // 000000006A8C: D9FE5600 44000013
	v_mfma_f32_16x16x16_bf16 a[112:115], a[104:105], v[82:83], a[112:115]// 000000006A94: D3E18070 0DC2A568
	buffer_atomic_add_f32 v158, v6, s[32:35], 0 idxen offset:128// 000000006A9C: E1342080 80089E06
	v_mfma_f32_16x16x16_bf16 a[116:119], a[106:107], v[82:83], a[116:119]// 000000006AA4: D3E18074 0DD2A56A
	ds_read_b128 v[72:75], v19 offset:23168                    // 000000006AAC: D9FE5A80 48000013
	v_mfma_f32_16x16x16_bf16 a[120:123], a[108:109], v[82:83], a[120:123]// 000000006AB4: D3E18078 0DE2A56C
	v_mfma_f32_16x16x16_bf16 a[124:127], a[110:111], v[82:83], a[124:127]// 000000006ABC: D3E1807C 0DF2A56E
	ds_write_b32 v15, v104 offset:13056                        // 000000006AC4: D81A3300 0000680F
	v_mfma_f32_16x16x16_bf16 a[128:131], a[104:105], v[84:85], a[128:131]// 000000006ACC: D3E18080 0E02A968
	v_mfma_f32_16x16x16_bf16 a[132:135], a[106:107], v[84:85], a[132:135]// 000000006AD4: D3E18084 0E12A96A
	ds_write_b32 v15, v105 offset:14112                        // 000000006ADC: D81A3720 0000690F
	v_mfma_f32_16x16x16_bf16 a[136:139], a[108:109], v[84:85], a[136:139]// 000000006AE4: D3E18088 0E22A96C
	buffer_atomic_add_f32 v159, v7, s[32:35], 0 idxen offset:128// 000000006AEC: E1342080 80089F07
	v_mfma_f32_16x16x16_bf16 a[140:143], a[110:111], v[84:85], a[140:143]// 000000006AF4: D3E1808C 0E32A96E
	ds_write_b32 v15, v106 offset:15232                        // 000000006AFC: D81A3B80 00006A0F
	v_mfma_f32_16x16x16_bf16 a[144:147], a[104:105], v[86:87], a[144:147]// 000000006B04: D3E18090 0E42AD68
	v_mfma_f32_16x16x16_bf16 a[148:151], a[106:107], v[86:87], a[148:151]// 000000006B0C: D3E18094 0E52AD6A
	ds_write_b32 v15, v107 offset:16288                        // 000000006B14: D81A3FA0 00006B0F
	v_mfma_f32_16x16x16_bf16 a[152:155], a[108:109], v[86:87], a[152:155]// 000000006B1C: D3E18098 0E62AD6C
	v_mfma_f32_16x16x16_bf16 a[156:159], a[110:111], v[86:87], a[156:159]// 000000006B24: D3E1809C 0E72AD6E
	s_waitcnt vmcnt(8) lgkmcnt(4)                              // 000000006B2C: BF8C0478
	s_barrier                                                  // 000000006B30: BF8A0000
	v_mfma_f32_16x16x16_bf16 v[148:151], v[52:53], a[24:25], 0 // 000000006B34: D3E10094 12023134
	v_mul_f32_e32 v140, s48, v140                              // 000000006B3C: 0B191830
	v_mul_f32_e32 v144, s48, v144                              // 000000006B40: 0B212030
	s_nop 0                                                    // 000000006B44: BF800000
	v_mfma_f32_16x16x16_bf16 v[148:151], v[54:55], a[28:29], v[148:151]// 000000006B48: D3E10094 16523936
	ds_read_b128 a[96:99], v12                                 // 000000006B50: DBFE0000 6000000C
	buffer_load_dword v40, v1, s[8:11], 0 idxen                // 000000006B58: E0502000 80022801
	v_mfma_f32_16x16x16_bf16 v[148:151], v[56:57], a[32:33], v[148:151]// 000000006B60: D3E10094 16524138
	v_mfma_f32_16x16x16_bf16 v[148:151], v[58:59], a[36:37], v[148:151]// 000000006B68: D3E10094 1652493A
	ds_read_b128 a[100:103], v12 offset:512                    // 000000006B70: DBFE0200 6400000C
	buffer_load_dword v41, v2, s[8:11], 0 idxen                // 000000006B78: E0502000 80022902
	v_mfma_f32_16x16x16_bf16 v[148:151], v[60:61], a[40:41], v[148:151]// 000000006B80: D3E10094 1652513C
	v_perm_b32 v100, v37, v36, s63                             // 000000006B88: D1ED0064 00FE4925
	v_perm_b32 v101, v37, v36, s64                             // 000000006B90: D1ED0065 01024925
	v_mfma_f32_16x16x16_bf16 v[148:151], v[62:63], a[44:45], v[148:151]// 000000006B98: D3E10094 1652593E
	ds_read_b128 a[104:107], v12 offset:2176                   // 000000006BA0: DBFE0880 6800000C
	buffer_load_dword v42, v3, s[8:11], 0 idxen                // 000000006BA8: E0502000 80022A03
	v_mfma_f32_16x16x16_bf16 v[148:151], v[64:65], a[48:49], v[148:151]// 000000006BB0: D3E10094 16526140
	v_perm_b32 v102, v39, v38, s63                             // 000000006BB8: D1ED0066 00FE4D27
	v_perm_b32 v103, v39, v38, s64                             // 000000006BC0: D1ED0067 01024D27
	v_mfma_f32_16x16x16_bf16 v[148:151], v[66:67], a[52:53], v[148:151]// 000000006BC8: D3E10094 16526942
	ds_read_b128 a[108:111], v12 offset:2688                   // 000000006BD0: DBFE0A80 6C00000C
	buffer_load_dword v43, v4, s[8:11], 0 idxen                // 000000006BD8: E0502000 80022B04
	v_mfma_f32_16x16x16_bf16 v[148:151], v[68:69], a[56:57], v[148:151]// 000000006BE0: D3E10094 16527144
	v_perm_b32 v104, v45, v44, s63                             // 000000006BE8: D1ED0068 00FE592D
	v_perm_b32 v105, v45, v44, s64                             // 000000006BF0: D1ED0069 0102592D
	v_mfma_f32_16x16x16_bf16 v[148:151], v[70:71], a[60:61], v[148:151]// 000000006BF8: D3E10094 16527946
	ds_read_b128 v[108:111], v12 offset:8704                   // 000000006C00: D9FE2200 6C00000C
	buffer_load_dword v48, v232, s[20:23], 0 idxen             // 000000006C08: E0502000 800530E8
	v_mfma_f32_16x16x16_bf16 v[148:151], v[72:73], a[64:65], v[148:151]// 000000006C10: D3E10094 16528148
	v_perm_b32 v106, v47, v46, s63                             // 000000006C18: D1ED006A 00FE5D2F
	v_perm_b32 v107, v47, v46, s64                             // 000000006C20: D1ED006B 01025D2F
	v_mfma_f32_16x16x16_bf16 v[148:151], v[74:75], a[68:69], v[148:151]// 000000006C28: D3E10094 1652894A
	ds_read_b128 v[112:115], v12 offset:9216                   // 000000006C30: D9FE2400 7000000C
	buffer_load_dword v49, v233, s[20:23], 0 idxen             // 000000006C38: E0502000 800531E9
	v_mfma_f32_16x16x16_bf16 v[152:155], v[52:53], a[26:27], 0 // 000000006C40: D3E10098 12023534
	v_mov_b32_dpp v143, v140 quad_perm:[3,3,3,3] row_mask:0xf bank_mask:0xf// 000000006C48: 7F1E02FA FF00FF8C
	v_mov_b32_dpp v142, v140 quad_perm:[2,2,2,2] row_mask:0xf bank_mask:0xf// 000000006C50: 7F1C02FA FF00AA8C
	v_mov_b32_dpp v141, v140 quad_perm:[1,1,1,1] row_mask:0xf bank_mask:0xf// 000000006C58: 7F1A02FA FF00558C
	v_mov_b32_dpp v140, v140 quad_perm:[0,0,0,0] row_mask:0xf bank_mask:0xf// 000000006C60: 7F1802FA FF00008C
	v_mfma_f32_16x16x16_bf16 v[152:155], v[54:55], a[30:31], v[152:155]// 000000006C68: D3E10098 16623D36
	ds_read_b128 v[116:119], v12 offset:10880                  // 000000006C70: D9FE2A80 7400000C
	buffer_load_dword v50, v234, s[20:23], 0 idxen             // 000000006C78: E0502000 800532EA
	v_mfma_f32_16x16x16_bf16 v[152:155], v[56:57], a[34:35], v[152:155]// 000000006C80: D3E10098 16624538
	v_mov_b32_dpp v147, v144 quad_perm:[3,3,3,3] row_mask:0xf bank_mask:0xf// 000000006C88: 7F2602FA FF00FF90
	v_mov_b32_dpp v146, v144 quad_perm:[2,2,2,2] row_mask:0xf bank_mask:0xf// 000000006C90: 7F2402FA FF00AA90
	v_mov_b32_dpp v145, v144 quad_perm:[1,1,1,1] row_mask:0xf bank_mask:0xf// 000000006C98: 7F2202FA FF005590
	v_mov_b32_dpp v144, v144 quad_perm:[0,0,0,0] row_mask:0xf bank_mask:0xf// 000000006CA0: 7F2002FA FF000090
	s_add_u32 s60, 0x80, s59                                   // 000000006CA8: 803C3BFF 00000080
	v_mfma_f32_16x16x16_bf16 v[152:155], v[58:59], a[38:39], v[152:155]// 000000006CB0: D3E10098 16624D3A
	ds_read_b128 v[120:123], v12 offset:11392                  // 000000006CB8: D9FE2C80 7800000C
	buffer_load_dword v51, v235, s[20:23], 0 idxen             // 000000006CC0: E0502000 800533EB
	v_mfma_f32_16x16x16_bf16 v[152:155], v[60:61], a[42:43], v[152:155]// 000000006CC8: D3E10098 1662553C
	s_cmp_lt_u32 s60, s58                                      // 000000006CD0: BF0A3A3C
	s_cselect_b32 s68, s68, 0                                  // 000000006CD4: 85448044
	s_cselect_b32 s100, s100, 0                                // 000000006CD8: 85648064
	s_cselect_b32 s69, s69, 0                                  // 000000006CDC: 85458045
	v_mfma_f32_16x16x16_bf16 v[152:155], v[62:63], a[46:47], v[152:155]// 000000006CE0: D3E10098 16625D3E
	buffer_load_dword v11, s[24:27], 0 idxen lds               // 000000006CE8: E0512000 8006000B
	v_mfma_f32_16x16x16_bf16 v[152:155], v[64:65], a[50:51], v[152:155]// 000000006CF0: D3E10098 16626540
	v_add_u32_e32 v1, s68, v1                                  // 000000006CF8: 68020244
	v_add_u32_e32 v2, s68, v2                                  // 000000006CFC: 68040444
	v_add_u32_e32 v3, s68, v3                                  // 000000006D00: 68060644
	v_add_u32_e32 v4, s68, v4                                  // 000000006D04: 68080844
	v_mfma_f32_16x16x16_bf16 v[152:155], v[66:67], a[54:55], v[152:155]// 000000006D08: D3E10098 16626D42
	v_add_u32_e32 v232, s100, v232                             // 000000006D10: 69D1D064
	v_add_u32_e32 v233, s100, v233                             // 000000006D14: 69D3D264
	v_add_u32_e32 v234, s100, v234                             // 000000006D18: 69D5D464
	v_add_u32_e32 v235, s100, v235                             // 000000006D1C: 69D7D664
	v_mfma_f32_16x16x16_bf16 v[152:155], v[68:69], a[58:59], v[152:155]// 000000006D20: D3E10098 16627544
	s_mov_b32 m0, s80                                          // 000000006D28: BEFC0050
	v_add_u32_e32 v11, s69, v11                                // 000000006D2C: 68161645
	v_mfma_f32_16x16x16_bf16 v[152:155], v[70:71], a[62:63], v[152:155]// 000000006D30: D3E10098 16627D46
	s_cmp_ge_u32 s59, s73                                      // 000000006D38: BF09493B
	s_cselect_b32 s66, s67, s66                                // 000000006D3C: 85424243
	v_mfma_f32_16x16x16_bf16 v[152:155], v[72:73], a[66:67], v[152:155]// 000000006D40: D3E10098 16628548
	s_addk_i32 s59, 0x20                                       // 000000006D48: B73B0020
	s_nop 0                                                    // 000000006D4C: BF800000
	s_cmp_lt_i32 s59, s58                                      // 000000006D50: BF043A3B
	v_mfma_f32_16x16x16_bf16 v[152:155], v[74:75], a[70:71], v[152:155]// 000000006D54: D3E10098 16628D4A
	s_cbranch_scc0 label_104F                                  // 000000006D5C: BF8404E5
	s_waitcnt lgkmcnt(4)                                       // 000000006D60: BF8CC47F
	s_barrier                                                  // 000000006D64: BF8A0000
	v_mfma_f32_16x16x16_bf16 v[52:55], a[96:97], a[0:1], 0     // 000000006D68: D3E10034 1A020160
	ds_write_b32 v13, v44 offset:8704                          // 000000006D70: D81A2200 00002C0D
	ds_write_b32 v13, v45 offset:9760                          // 000000006D78: D81A2620 00002D0D
	v_mfma_f32_16x16x16_bf16 v[52:55], a[98:99], a[2:3], v[52:55]// 000000006D80: D3E10034 1CD20562
	v_mul_f32_e32 v148, s47, v148                              // 000000006D88: 0B29282F
	v_mul_f32_e32 v149, s47, v149                              // 000000006D8C: 0B2B2A2F
	v_mfma_f32_16x16x16_bf16 v[52:55], a[100:101], a[4:5], v[52:55]// 000000006D90: D3E10034 1CD20964
	ds_write_b32 v13, v46 offset:10880                         // 000000006D98: D81A2A80 00002E0D
	ds_write_b32 v13, v47 offset:11936                         // 000000006DA0: D81A2EA0 00002F0D
	v_mfma_f32_16x16x16_bf16 v[52:55], a[102:103], a[6:7], v[52:55]// 000000006DA8: D3E10034 1CD20D66
	v_mul_f32_e32 v150, s47, v150                              // 000000006DB0: 0B2D2C2F
	v_mul_f32_e32 v151, s47, v151                              // 000000006DB4: 0B2F2E2F
	v_mfma_f32_16x16x16_bf16 v[56:59], a[96:97], a[8:9], 0     // 000000006DB8: D3E10038 1A021160
	ds_write_b64 v22, v[148:149] offset:31232                  // 000000006DC0: D89A7A00 00009416
	v_mfma_f32_16x16x16_bf16 v[56:59], a[98:99], a[10:11], v[56:59]// 000000006DC8: D3E10038 1CE21562
	v_mul_f32_e32 v152, s47, v152                              // 000000006DD0: 0B31302F
	v_mul_f32_e32 v153, s47, v153                              // 000000006DD4: 0B33322F
	v_mfma_f32_16x16x16_bf16 v[56:59], a[100:101], a[12:13], v[56:59]// 000000006DD8: D3E10038 1CE21964
	ds_write_b64 v22, v[150:151] offset:31744                  // 000000006DE0: D89A7C00 00009616
	v_mfma_f32_16x16x16_bf16 v[56:59], a[102:103], a[14:15], v[56:59]// 000000006DE8: D3E10038 1CE21D66
	v_mul_f32_e32 v154, s47, v154                              // 000000006DF0: 0B35342F
	v_mul_f32_e32 v155, s47, v155                              // 000000006DF4: 0B37362F
	v_mfma_f32_16x16x16_bf16 v[60:63], a[96:97], a[16:17], 0   // 000000006DF8: D3E1003C 1A022160
	ds_write_b64 v22, v[152:153] offset:32256                  // 000000006E00: D89A7E00 00009816
	v_mfma_f32_16x16x16_bf16 v[60:63], a[98:99], a[18:19], v[60:63]// 000000006E08: D3E1003C 1CF22562
	buffer_atomic_add_f32 v160, v8, s[32:35], 0 idxen          // 000000006E10: E1342000 8008A008
	v_mfma_f32_16x16x16_bf16 v[60:63], a[100:101], a[20:21], v[60:63]// 000000006E18: D3E1003C 1CF22964
	ds_write_b64 v22, v[154:155] offset:32768                  // 000000006E20: D89A8000 00009A16
	v_mfma_f32_16x16x16_bf16 v[60:63], a[102:103], a[22:23], v[60:63]// 000000006E28: D3E1003C 1CF22D66
	v_mfma_f32_16x16x16_bf16 v[64:67], a[104:105], a[0:1], 0   // 000000006E30: D3E10040 1A020168
	ds_read_b128 v[124:127], v14 offset:13056                  // 000000006E38: D9FE3300 7C00000E
	ds_write_b32 v13, v36                                      // 000000006E40: D81A0000 0000240D
	v_mfma_f32_16x16x16_bf16 v[64:67], a[106:107], a[2:3], v[64:67]// 000000006E48: D3E10040 1D02056A
	buffer_atomic_add_f32 v161, v9, s[32:35], 0 idxen          // 000000006E50: E1342000 8008A109
	v_mfma_f32_16x16x16_bf16 v[64:67], a[108:109], a[4:5], v[64:67]// 000000006E58: D3E10040 1D02096C
	v_mfma_f32_16x16x16_bf16 v[64:67], a[110:111], a[6:7], v[64:67]// 000000006E60: D3E10040 1D020D6E
	ds_read_b128 v[128:131], v14 offset:13568                  // 000000006E68: D9FE3500 8000000E
	ds_write_b32 v13, v37 offset:1056                          // 000000006E70: D81A0420 0000250D
	v_mfma_f32_16x16x16_bf16 v[68:71], a[104:105], a[8:9], 0   // 000000006E78: D3E10044 1A021168
	buffer_atomic_add_f32 v162, v8, s[32:35], 0 idxen offset:128// 000000006E80: E1342080 8008A208
	v_mfma_f32_16x16x16_bf16 v[68:71], a[106:107], a[10:11], v[68:71]// 000000006E88: D3E10044 1D12156A
	v_mfma_f32_16x16x16_bf16 v[68:71], a[108:109], a[12:13], v[68:71]// 000000006E90: D3E10044 1D12196C
	ds_read_b128 v[132:135], v14 offset:15232                  // 000000006E98: D9FE3B80 8400000E
	ds_write_b32 v13, v38 offset:2176                          // 000000006EA0: D81A0880 0000260D
	v_mfma_f32_16x16x16_bf16 v[68:71], a[110:111], a[14:15], v[68:71]// 000000006EA8: D3E10044 1D121D6E
	v_mfma_f32_16x16x16_bf16 v[72:75], a[104:105], a[16:17], 0 // 000000006EB0: D3E10048 1A022168
	buffer_atomic_add_f32 v163, v9, s[32:35], 0 idxen offset:128// 000000006EB8: E1342080 8008A309
	v_mfma_f32_16x16x16_bf16 v[72:75], a[106:107], a[18:19], v[72:75]// 000000006EC0: D3E10048 1D22256A
	ds_read_b128 v[136:139], v14 offset:15744                  // 000000006EC8: D9FE3D80 8800000E
	ds_write_b32 v13, v39 offset:3232                          // 000000006ED0: D81A0CA0 0000270D
	v_mfma_f32_16x16x16_bf16 v[72:75], a[108:109], a[20:21], v[72:75]// 000000006ED8: D3E10048 1D22296C
	v_mfma_f32_16x16x16_bf16 v[72:75], a[110:111], a[22:23], v[72:75]// 000000006EE0: D3E10048 1D222D6E
	s_cmp_eq_i32 s82, 0                                        // 000000006EE8: BF008052
	s_cbranch_scc1 label_0CBE                                  // 000000006EEC: BF8500F0
	s_cmp_lt_i32 s74, 6                                        // 000000006EF0: BF04864A
	s_cbranch_scc0 label_0C45                                  // 000000006EF4: BF84007E
	s_lshl_b32 s60, s74, 5                                     // 000000006EF8: 8E3C854A
	s_lshl_b32 s61, 0, 4                                       // 000000006EFC: 8E3D8480
	s_add_i32 s60, s60, s61                                    // 000000006F00: 813C3D3C
	v_sub_i32 v32, v236, s60                                   // 000000006F04: D29D0020 000079EC
	s_mov_b32 s61, 0                                           // 000000006F0C: BEBD0080
	v_add_i32 v33, v32, s61                                    // 000000006F10: D29C0021 00007B20
	v_cmp_gt_i32_e64 s[60:61], v33, 0                          // 000000006F18: D0C4003C 00010121
	v_cmp_gt_i32_e64 s[70:71], v33, 1                          // 000000006F20: D0C40046 00010321
	v_cndmask_b32_e64 v52, v52, v178, s[60:61]                 // 000000006F28: D1000034 00F36534
	v_cndmask_b32_e64 v53, v53, v178, s[70:71]                 // 000000006F30: D1000035 011B6535
	v_cmp_gt_i32_e64 s[60:61], v33, 2                          // 000000006F38: D0C4003C 00010521
	v_cmp_gt_i32_e64 s[70:71], v33, 3                          // 000000006F40: D0C40046 00010721
	v_cndmask_b32_e64 v54, v54, v178, s[60:61]                 // 000000006F48: D1000036 00F36536
	v_cndmask_b32_e64 v55, v55, v178, s[70:71]                 // 000000006F50: D1000037 011B6537
	s_mov_b32 s61, 64                                          // 000000006F58: BEBD00C0
	v_add_i32 v33, v32, s61                                    // 000000006F5C: D29C0021 00007B20
	v_cmp_gt_i32_e64 s[60:61], v33, 0                          // 000000006F64: D0C4003C 00010121
	v_cmp_gt_i32_e64 s[70:71], v33, 1                          // 000000006F6C: D0C40046 00010321
	v_cndmask_b32_e64 v56, v56, v178, s[60:61]                 // 000000006F74: D1000038 00F36538
	v_cndmask_b32_e64 v57, v57, v178, s[70:71]                 // 000000006F7C: D1000039 011B6539
	v_cmp_gt_i32_e64 s[60:61], v33, 2                          // 000000006F84: D0C4003C 00010521
	v_cmp_gt_i32_e64 s[70:71], v33, 3                          // 000000006F8C: D0C40046 00010721
	v_cndmask_b32_e64 v58, v58, v178, s[60:61]                 // 000000006F94: D100003A 00F3653A
	v_cndmask_b32_e64 v59, v59, v178, s[70:71]                 // 000000006F9C: D100003B 011B653B
	s_mov_b32 s61, 0x80                                        // 000000006FA4: BEBD00FF 00000080
	v_add_i32 v33, v32, s61                                    // 000000006FAC: D29C0021 00007B20
	v_cmp_gt_i32_e64 s[60:61], v33, 0                          // 000000006FB4: D0C4003C 00010121
	v_cmp_gt_i32_e64 s[70:71], v33, 1                          // 000000006FBC: D0C40046 00010321
	v_cndmask_b32_e64 v60, v60, v178, s[60:61]                 // 000000006FC4: D100003C 00F3653C
	v_cndmask_b32_e64 v61, v61, v178, s[70:71]                 // 000000006FCC: D100003D 011B653D
	v_cmp_gt_i32_e64 s[60:61], v33, 2                          // 000000006FD4: D0C4003C 00010521
	v_cmp_gt_i32_e64 s[70:71], v33, 3                          // 000000006FDC: D0C40046 00010721
	v_cndmask_b32_e64 v62, v62, v178, s[60:61]                 // 000000006FE4: D100003E 00F3653E
	v_cndmask_b32_e64 v63, v63, v178, s[70:71]                 // 000000006FEC: D100003F 011B653F
	s_lshl_b32 s60, s74, 5                                     // 000000006FF4: 8E3C854A
	s_lshl_b32 s61, 1, 4                                       // 000000006FF8: 8E3D8481
	s_add_i32 s60, s60, s61                                    // 000000006FFC: 813C3D3C
	v_sub_i32 v32, v236, s60                                   // 000000007000: D29D0020 000079EC
	s_mov_b32 s61, 0                                           // 000000007008: BEBD0080
	v_add_i32 v33, v32, s61                                    // 00000000700C: D29C0021 00007B20
	v_cmp_gt_i32_e64 s[60:61], v33, 0                          // 000000007014: D0C4003C 00010121
	v_cmp_gt_i32_e64 s[70:71], v33, 1                          // 00000000701C: D0C40046 00010321
	v_cndmask_b32_e64 v64, v64, v178, s[60:61]                 // 000000007024: D1000040 00F36540
	v_cndmask_b32_e64 v65, v65, v178, s[70:71]                 // 00000000702C: D1000041 011B6541
	v_cmp_gt_i32_e64 s[60:61], v33, 2                          // 000000007034: D0C4003C 00010521
	v_cmp_gt_i32_e64 s[70:71], v33, 3                          // 00000000703C: D0C40046 00010721
	v_cndmask_b32_e64 v66, v66, v178, s[60:61]                 // 000000007044: D1000042 00F36542
	v_cndmask_b32_e64 v67, v67, v178, s[70:71]                 // 00000000704C: D1000043 011B6543
	s_mov_b32 s61, 64                                          // 000000007054: BEBD00C0
	v_add_i32 v33, v32, s61                                    // 000000007058: D29C0021 00007B20
	v_cmp_gt_i32_e64 s[60:61], v33, 0                          // 000000007060: D0C4003C 00010121
	v_cmp_gt_i32_e64 s[70:71], v33, 1                          // 000000007068: D0C40046 00010321
	v_cndmask_b32_e64 v68, v68, v178, s[60:61]                 // 000000007070: D1000044 00F36544
	v_cndmask_b32_e64 v69, v69, v178, s[70:71]                 // 000000007078: D1000045 011B6545
	v_cmp_gt_i32_e64 s[60:61], v33, 2                          // 000000007080: D0C4003C 00010521
	v_cmp_gt_i32_e64 s[70:71], v33, 3                          // 000000007088: D0C40046 00010721
	v_cndmask_b32_e64 v70, v70, v178, s[60:61]                 // 000000007090: D1000046 00F36546
	v_cndmask_b32_e64 v71, v71, v178, s[70:71]                 // 000000007098: D1000047 011B6547
	s_mov_b32 s61, 0x80                                        // 0000000070A0: BEBD00FF 00000080
	v_add_i32 v33, v32, s61                                    // 0000000070A8: D29C0021 00007B20
	v_cmp_gt_i32_e64 s[60:61], v33, 0                          // 0000000070B0: D0C4003C 00010121
	v_cmp_gt_i32_e64 s[70:71], v33, 1                          // 0000000070B8: D0C40046 00010321
	v_cndmask_b32_e64 v72, v72, v178, s[60:61]                 // 0000000070C0: D1000048 00F36548
	v_cndmask_b32_e64 v73, v73, v178, s[70:71]                 // 0000000070C8: D1000049 011B6549
	v_cmp_gt_i32_e64 s[60:61], v33, 2                          // 0000000070D0: D0C4003C 00010521
	v_cmp_gt_i32_e64 s[70:71], v33, 3                          // 0000000070D8: D0C40046 00010721
	v_cndmask_b32_e64 v74, v74, v178, s[60:61]                 // 0000000070E0: D100004A 00F3654A
	v_cndmask_b32_e64 v75, v75, v178, s[70:71]                 // 0000000070E8: D100004B 011B654B

00000000000070f0 <label_0C45>:
	s_cmp_lt_i32 s84, 0xc0                                     // 0000000070F0: BF04FF54 000000C0
	s_cbranch_scc0 label_0CBE                                  // 0000000070F8: BF84006D
	s_cmp_le_i32 s84, 64                                       // 0000000070FC: BF05C054
	s_cbranch_scc1 label_0C51                                  // 000000007100: BF850007
	s_cmp_le_i32 s84, 0x80                                     // 000000007104: BF05FF54 00000080
	s_cbranch_scc1 label_0C75                                  // 00000000710C: BF85001F
	s_cmp_lt_i32 s84, 0xc0                                     // 000000007110: BF04FF54 000000C0
	s_cbranch_scc1 label_0C99                                  // 000000007118: BF850040
	s_branch label_0CBE                                        // 00000000711C: BF820064

0000000000007120 <label_0C51>:
	s_mov_b32 s60, 0                                           // 000000007120: BEBC0080
	v_and_b32_e32 v32, 15, v0                                  // 000000007124: 2640008F
	v_add_u32_e64 v32, v32, s60                                // 000000007128: D1340020 00007920
	v_mul_i32_i24_e64 v33, s46, 16                             // 000000007130: D1060021 0001202E
	v_add_u32_e32 v32, v32, v33                                // 000000007138: 68404320
	v_cmp_lt_u32_e64 s[60:61], v32, s84                        // 00000000713C: D0C9003C 0000A920
	s_nop 1                                                    // 000000007144: BF800001
	v_cndmask_b32_e64 v52, v178, v52, s[60:61]                 // 000000007148: D1000034 00F269B2
	v_cndmask_b32_e64 v64, v178, v64, s[60:61]                 // 000000007150: D1000040 00F281B2
	v_cndmask_b32_e64 v53, v178, v53, s[60:61]                 // 000000007158: D1000035 00F26BB2
	v_cndmask_b32_e64 v65, v178, v65, s[60:61]                 // 000000007160: D1000041 00F283B2
	v_cndmask_b32_e64 v54, v178, v54, s[60:61]                 // 000000007168: D1000036 00F26DB2
	v_cndmask_b32_e64 v66, v178, v66, s[60:61]                 // 000000007170: D1000042 00F285B2
	v_cndmask_b32_e64 v55, v178, v55, s[60:61]                 // 000000007178: D1000037 00F26FB2
	v_cndmask_b32_e64 v67, v178, v67, s[60:61]                 // 000000007180: D1000043 00F287B2
	s_branch label_0C90                                        // 000000007188: BF82001B

000000000000718c <label_0C75>:
	s_mov_b32 s60, 64                                          // 00000000718C: BEBC00C0
	v_and_b32_e32 v32, 15, v0                                  // 000000007190: 2640008F
	v_add_u32_e64 v32, v32, s60                                // 000000007194: D1340020 00007920
	v_mul_i32_i24_e64 v33, s46, 16                             // 00000000719C: D1060021 0001202E
	v_add_u32_e32 v32, v32, v33                                // 0000000071A4: 68404320
	v_cmp_lt_u32_e64 s[60:61], v32, s84                        // 0000000071A8: D0C9003C 0000A920
	s_nop 1                                                    // 0000000071B0: BF800001
	v_cndmask_b32_e64 v56, v178, v56, s[60:61]                 // 0000000071B4: D1000038 00F271B2
	v_cndmask_b32_e64 v68, v178, v68, s[60:61]                 // 0000000071BC: D1000044 00F289B2
	v_cndmask_b32_e64 v57, v178, v57, s[60:61]                 // 0000000071C4: D1000039 00F273B2
	v_cndmask_b32_e64 v69, v178, v69, s[60:61]                 // 0000000071CC: D1000045 00F28BB2
	v_cndmask_b32_e64 v58, v178, v58, s[60:61]                 // 0000000071D4: D100003A 00F275B2
	v_cndmask_b32_e64 v70, v178, v70, s[60:61]                 // 0000000071DC: D1000046 00F28DB2
	v_cndmask_b32_e64 v59, v178, v59, s[60:61]                 // 0000000071E4: D100003B 00F277B2
	v_cndmask_b32_e64 v71, v178, v71, s[60:61]                 // 0000000071EC: D1000047 00F28FB2
	s_branch label_0CB5                                        // 0000000071F4: BF820025

00000000000071f8 <label_0C90>:
	v_mov_b32_e32 v56, v178                                    // 0000000071F8: 7E7003B2
	v_mov_b32_e32 v68, v178                                    // 0000000071FC: 7E8803B2
	v_mov_b32_e32 v57, v178                                    // 000000007200: 7E7203B2
	v_mov_b32_e32 v69, v178                                    // 000000007204: 7E8A03B2
	v_mov_b32_e32 v58, v178                                    // 000000007208: 7E7403B2
	v_mov_b32_e32 v70, v178                                    // 00000000720C: 7E8C03B2
	v_mov_b32_e32 v59, v178                                    // 000000007210: 7E7603B2
	v_mov_b32_e32 v71, v178                                    // 000000007214: 7E8E03B2
	s_branch label_0CB5                                        // 000000007218: BF82001C

000000000000721c <label_0C99>:
	s_mov_b32 s60, 0x80                                        // 00000000721C: BEBC00FF 00000080
	v_and_b32_e32 v32, 15, v0                                  // 000000007224: 2640008F
	v_add_u32_e64 v32, v32, s60                                // 000000007228: D1340020 00007920
	v_mul_i32_i24_e64 v33, s46, 16                             // 000000007230: D1060021 0001202E
	v_add_u32_e32 v32, v32, v33                                // 000000007238: 68404320
	v_cmp_lt_u32_e64 s[60:61], v32, s84                        // 00000000723C: D0C9003C 0000A920
	s_nop 1                                                    // 000000007244: BF800001
	v_cndmask_b32_e64 v60, v178, v60, s[60:61]                 // 000000007248: D100003C 00F279B2
	v_cndmask_b32_e64 v72, v178, v72, s[60:61]                 // 000000007250: D1000048 00F291B2
	v_cndmask_b32_e64 v61, v178, v61, s[60:61]                 // 000000007258: D100003D 00F27BB2
	v_cndmask_b32_e64 v73, v178, v73, s[60:61]                 // 000000007260: D1000049 00F293B2
	v_cndmask_b32_e64 v62, v178, v62, s[60:61]                 // 000000007268: D100003E 00F27DB2
	v_cndmask_b32_e64 v74, v178, v74, s[60:61]                 // 000000007270: D100004A 00F295B2
	v_cndmask_b32_e64 v63, v178, v63, s[60:61]                 // 000000007278: D100003F 00F27FB2
	v_cndmask_b32_e64 v75, v178, v75, s[60:61]                 // 000000007280: D100004B 00F297B2
	s_branch label_0CBE                                        // 000000007288: BF820009

000000000000728c <label_0CB5>:
	v_mov_b32_e32 v60, v178                                    // 00000000728C: 7E7803B2
	v_mov_b32_e32 v72, v178                                    // 000000007290: 7E9003B2
	v_mov_b32_e32 v61, v178                                    // 000000007294: 7E7A03B2
	v_mov_b32_e32 v73, v178                                    // 000000007298: 7E9203B2
	v_mov_b32_e32 v62, v178                                    // 00000000729C: 7E7C03B2
	v_mov_b32_e32 v74, v178                                    // 0000000072A0: 7E9403B2
	v_mov_b32_e32 v63, v178                                    // 0000000072A4: 7E7E03B2
	v_mov_b32_e32 v75, v178                                    // 0000000072A8: 7E9603B2
	s_branch label_0CBE                                        // 0000000072AC: BF820000

00000000000072b0 <label_0CBE>:
	s_addk_i32 s74, 0x1                                        // 0000000072B0: B74A0001
	s_waitcnt lgkmcnt(8)                                       // 0000000072B4: BF8CC87F
	s_barrier                                                  // 0000000072B8: BF8A0000
	v_mfma_f32_16x16x16_bf16 v[76:79], v[108:109], a[72:73], 0 // 0000000072BC: D3E1004C 1202916C
	ds_read_b128 a[96:99], v14 offset:4352                     // 0000000072C4: DBFE1100 6000000E
	ds_read_b128 a[100:103], v14 offset:4864                   // 0000000072CC: DBFE1300 6400000E
	v_mfma_f32_16x16x16_bf16 v[76:79], v[110:111], a[74:75], v[76:79]// 0000000072D4: D3E1004C 1532956E
	v_fma_f32 v52, v52, s57, -v140                             // 0000000072DC: D1CB0034 86307334
	v_fma_f32 v53, v53, s57, -v141                             // 0000000072E4: D1CB0035 86347335
	v_fma_f32 v54, v54, s57, -v142                             // 0000000072EC: D1CB0036 86387336
	v_fma_f32 v55, v55, s57, -v143                             // 0000000072F4: D1CB0037 863C7337
	v_fma_f32 v56, v56, s57, -v140                             // 0000000072FC: D1CB0038 86307338
	v_fma_f32 v57, v57, s57, -v141                             // 000000007304: D1CB0039 86347339
	v_mfma_f32_16x16x16_bf16 v[76:79], v[112:113], a[76:77], v[76:79]// 00000000730C: D3E1004C 15329970
	v_fma_f32 v58, v58, s57, -v142                             // 000000007314: D1CB003A 8638733A
	v_fma_f32 v59, v59, s57, -v143                             // 00000000731C: D1CB003B 863C733B
	v_fma_f32 v60, v60, s57, -v140                             // 000000007324: D1CB003C 8630733C
	v_fma_f32 v61, v61, s57, -v141                             // 00000000732C: D1CB003D 8634733D
	v_fma_f32 v62, v62, s57, -v142                             // 000000007334: D1CB003E 8638733E
	v_fma_f32 v63, v63, s57, -v143                             // 00000000733C: D1CB003F 863C733F
	v_mfma_f32_16x16x16_bf16 v[76:79], v[114:115], a[78:79], v[76:79]// 000000007344: D3E1004C 15329D72
	v_fma_f32 v64, v64, s57, -v144                             // 00000000734C: D1CB0040 86407340
	v_fma_f32 v65, v65, s57, -v145                             // 000000007354: D1CB0041 86447341
	v_fma_f32 v66, v66, s57, -v146                             // 00000000735C: D1CB0042 86487342
	v_fma_f32 v67, v67, s57, -v147                             // 000000007364: D1CB0043 864C7343
	v_fma_f32 v68, v68, s57, -v144                             // 00000000736C: D1CB0044 86407344
	v_fma_f32 v69, v69, s57, -v145                             // 000000007374: D1CB0045 86447345
	v_mfma_f32_16x16x16_bf16 v[80:83], v[108:109], a[80:81], 0 // 00000000737C: D3E10050 1202A16C
	ds_read_b128 a[104:107], v14 offset:6528                   // 000000007384: DBFE1980 6800000E
	ds_read_b128 a[108:111], v14 offset:7040                   // 00000000738C: DBFE1B80 6C00000E
	v_mfma_f32_16x16x16_bf16 v[80:83], v[110:111], a[82:83], v[80:83]// 000000007394: D3E10050 1542A56E
	v_fma_f32 v70, v70, s57, -v146                             // 00000000739C: D1CB0046 86487346
	v_fma_f32 v71, v71, s57, -v147                             // 0000000073A4: D1CB0047 864C7347
	v_fma_f32 v72, v72, s57, -v144                             // 0000000073AC: D1CB0048 86407348
	v_fma_f32 v73, v73, s57, -v145                             // 0000000073B4: D1CB0049 86447349
	v_fma_f32 v74, v74, s57, -v146                             // 0000000073BC: D1CB004A 8648734A
	v_fma_f32 v75, v75, s57, -v147                             // 0000000073C4: D1CB004B 864C734B
	v_mfma_f32_16x16x16_bf16 v[80:83], v[112:113], a[84:85], v[80:83]// 0000000073CC: D3E10050 1542A970
	v_exp_f32_e32 v52, v52                                     // 0000000073D4: 7E684134
	v_exp_f32_e32 v53, v53                                     // 0000000073D8: 7E6A4135
	v_mfma_f32_16x16x16_bf16 v[80:83], v[114:115], a[86:87], v[80:83]// 0000000073DC: D3E10050 1542AD72
	v_exp_f32_e32 v54, v54                                     // 0000000073E4: 7E6C4136
	v_exp_f32_e32 v55, v55                                     // 0000000073E8: 7E6E4137
	v_mfma_f32_16x16x16_bf16 v[84:87], v[108:109], a[88:89], 0 // 0000000073EC: D3E10054 1202B16C
	ds_read_b64 v[156:157], v21 offset:31232                   // 0000000073F4: D8EC7A00 9C000015
	ds_read_b64 v[158:159], v21 offset:33280                   // 0000000073FC: D8EC8200 9E000015
	v_mfma_f32_16x16x16_bf16 v[84:87], v[110:111], a[90:91], v[84:87]// 000000007404: D3E10054 1552B56E
	v_exp_f32_e32 v56, v56                                     // 00000000740C: 7E704138
	v_exp_f32_e32 v57, v57                                     // 000000007410: 7E724139
	v_mfma_f32_16x16x16_bf16 v[84:87], v[112:113], a[92:93], v[84:87]// 000000007414: D3E10054 1552B970
	ds_read_b64 v[160:161], v21 offset:35328                   // 00000000741C: D8EC8A00 A0000015
	ds_read_b64 v[162:163], v21 offset:37376                   // 000000007424: D8EC9200 A2000015
	v_mfma_f32_16x16x16_bf16 v[84:87], v[114:115], a[94:95], v[84:87]// 00000000742C: D3E10054 1552BD72
	v_exp_f32_e32 v58, v58                                     // 000000007434: 7E74413A
	v_exp_f32_e32 v59, v59                                     // 000000007438: 7E76413B
	v_mfma_f32_16x16x16_bf16 v[88:91], v[116:117], a[72:73], 0 // 00000000743C: D3E10058 12029174
	v_exp_f32_e32 v60, v60                                     // 000000007444: 7E78413C
	v_exp_f32_e32 v61, v61                                     // 000000007448: 7E7A413D
	v_mfma_f32_16x16x16_bf16 v[88:91], v[118:119], a[74:75], v[88:91]// 00000000744C: D3E10058 15629576
	v_exp_f32_e32 v62, v62                                     // 000000007454: 7E7C413E
	v_exp_f32_e32 v63, v63                                     // 000000007458: 7E7E413F
	v_mfma_f32_16x16x16_bf16 v[88:91], v[120:121], a[76:77], v[88:91]// 00000000745C: D3E10058 15629978
	v_exp_f32_e32 v64, v64                                     // 000000007464: 7E804140
	v_exp_f32_e32 v65, v65                                     // 000000007468: 7E824141
	v_mfma_f32_16x16x16_bf16 v[88:91], v[122:123], a[78:79], v[88:91]// 00000000746C: D3E10058 15629D7A
	v_exp_f32_e32 v66, v66                                     // 000000007474: 7E844142
	v_exp_f32_e32 v67, v67                                     // 000000007478: 7E864143
	v_mfma_f32_16x16x16_bf16 v[92:95], v[116:117], a[80:81], 0 // 00000000747C: D3E1005C 1202A174
	v_exp_f32_e32 v68, v68                                     // 000000007484: 7E884144
	v_exp_f32_e32 v69, v69                                     // 000000007488: 7E8A4145
	v_mfma_f32_16x16x16_bf16 v[92:95], v[118:119], a[82:83], v[92:95]// 00000000748C: D3E1005C 1572A576
	v_exp_f32_e32 v70, v70                                     // 000000007494: 7E8C4146
	v_exp_f32_e32 v71, v71                                     // 000000007498: 7E8E4147
	v_mfma_f32_16x16x16_bf16 v[92:95], v[120:121], a[84:85], v[92:95]// 00000000749C: D3E1005C 1572A978
	v_exp_f32_e32 v72, v72                                     // 0000000074A4: 7E904148
	v_exp_f32_e32 v73, v73                                     // 0000000074A8: 7E924149
	v_mfma_f32_16x16x16_bf16 v[92:95], v[122:123], a[86:87], v[92:95]// 0000000074AC: D3E1005C 1572AD7A
	v_exp_f32_e32 v74, v74                                     // 0000000074B4: 7E94414A
	v_exp_f32_e32 v75, v75                                     // 0000000074B8: 7E96414B
	v_mfma_f32_16x16x16_bf16 v[96:99], v[116:117], a[88:89], 0 // 0000000074BC: D3E10060 1202B174
	v_cmp_u_f32_e64 s[78:79], v52, v52                         // 0000000074C4: D048004E 00026934
	v_add3_u32 v228, v52, v231, 1                              // 0000000074CC: D1FF00E4 0207CF34
	v_cndmask_b32_e64 v32, v228, v230, s[78:79]                // 0000000074D4: D1000020 013BCDE4
	v_cmp_u_f32_e64 s[78:79], v53, v53                         // 0000000074DC: D048004E 00026B35
	v_add3_u32 v228, v53, v231, 1                              // 0000000074E4: D1FF00E4 0207CF35
	v_cndmask_b32_e64 v33, v228, v230, s[78:79]                // 0000000074EC: D1000021 013BCDE4
	v_perm_b32 v164, v33, v32, s64                             // 0000000074F4: D1ED00A4 01024121
	v_cmp_u_f32_e64 s[78:79], v54, v54                         // 0000000074FC: D048004E 00026D36
	v_add3_u32 v228, v54, v231, 1                              // 000000007504: D1FF00E4 0207CF36
	v_cndmask_b32_e64 v32, v228, v230, s[78:79]                // 00000000750C: D1000020 013BCDE4
	v_cmp_u_f32_e64 s[78:79], v55, v55                         // 000000007514: D048004E 00026F37
	v_add3_u32 v228, v55, v231, 1                              // 00000000751C: D1FF00E4 0207CF37
	v_cndmask_b32_e64 v33, v228, v230, s[78:79]                // 000000007524: D1000021 013BCDE4
	v_perm_b32 v165, v33, v32, s64                             // 00000000752C: D1ED00A5 01024121
	v_cmp_u_f32_e64 s[78:79], v56, v56                         // 000000007534: D048004E 00027138
	v_add3_u32 v228, v56, v231, 1                              // 00000000753C: D1FF00E4 0207CF38
	v_cndmask_b32_e64 v32, v228, v230, s[78:79]                // 000000007544: D1000020 013BCDE4
	v_cmp_u_f32_e64 s[78:79], v57, v57                         // 00000000754C: D048004E 00027339
	v_add3_u32 v228, v57, v231, 1                              // 000000007554: D1FF00E4 0207CF39
	v_cndmask_b32_e64 v33, v228, v230, s[78:79]                // 00000000755C: D1000021 013BCDE4
	v_perm_b32 v166, v33, v32, s64                             // 000000007564: D1ED00A6 01024121
	v_cmp_u_f32_e64 s[78:79], v58, v58                         // 00000000756C: D048004E 0002753A
	v_add3_u32 v228, v58, v231, 1                              // 000000007574: D1FF00E4 0207CF3A
	v_cndmask_b32_e64 v32, v228, v230, s[78:79]                // 00000000757C: D1000020 013BCDE4
	v_cmp_u_f32_e64 s[78:79], v59, v59                         // 000000007584: D048004E 0002773B
	v_add3_u32 v228, v59, v231, 1                              // 00000000758C: D1FF00E4 0207CF3B
	v_cndmask_b32_e64 v33, v228, v230, s[78:79]                // 000000007594: D1000021 013BCDE4
	v_perm_b32 v167, v33, v32, s64                             // 00000000759C: D1ED00A7 01024121
	v_cmp_u_f32_e64 s[78:79], v60, v60                         // 0000000075A4: D048004E 0002793C
	v_add3_u32 v228, v60, v231, 1                              // 0000000075AC: D1FF00E4 0207CF3C
	v_cndmask_b32_e64 v32, v228, v230, s[78:79]                // 0000000075B4: D1000020 013BCDE4
	v_cmp_u_f32_e64 s[78:79], v61, v61                         // 0000000075BC: D048004E 00027B3D
	v_add3_u32 v228, v61, v231, 1                              // 0000000075C4: D1FF00E4 0207CF3D
	v_cndmask_b32_e64 v33, v228, v230, s[78:79]                // 0000000075CC: D1000021 013BCDE4
	v_perm_b32 v168, v33, v32, s64                             // 0000000075D4: D1ED00A8 01024121
	v_cmp_u_f32_e64 s[78:79], v62, v62                         // 0000000075DC: D048004E 00027D3E
	v_add3_u32 v228, v62, v231, 1                              // 0000000075E4: D1FF00E4 0207CF3E
	v_cndmask_b32_e64 v32, v228, v230, s[78:79]                // 0000000075EC: D1000020 013BCDE4
	v_cmp_u_f32_e64 s[78:79], v63, v63                         // 0000000075F4: D048004E 00027F3F
	v_add3_u32 v228, v63, v231, 1                              // 0000000075FC: D1FF00E4 0207CF3F
	v_cndmask_b32_e64 v33, v228, v230, s[78:79]                // 000000007604: D1000021 013BCDE4
	v_perm_b32 v169, v33, v32, s64                             // 00000000760C: D1ED00A9 01024121
	v_mfma_f32_16x16x16_bf16 v[96:99], v[118:119], a[90:91], v[96:99]// 000000007614: D3E10060 1582B576
	v_cmp_u_f32_e64 s[78:79], v64, v64                         // 00000000761C: D048004E 00028140
	v_add3_u32 v228, v64, v231, 1                              // 000000007624: D1FF00E4 0207CF40
	v_cndmask_b32_e64 v32, v228, v230, s[78:79]                // 00000000762C: D1000020 013BCDE4
	v_cmp_u_f32_e64 s[78:79], v65, v65                         // 000000007634: D048004E 00028341
	v_add3_u32 v228, v65, v231, 1                              // 00000000763C: D1FF00E4 0207CF41
	v_cndmask_b32_e64 v33, v228, v230, s[78:79]                // 000000007644: D1000021 013BCDE4
	v_perm_b32 v170, v33, v32, s64                             // 00000000764C: D1ED00AA 01024121
	v_cmp_u_f32_e64 s[78:79], v66, v66                         // 000000007654: D048004E 00028542
	v_add3_u32 v228, v66, v231, 1                              // 00000000765C: D1FF00E4 0207CF42
	v_cndmask_b32_e64 v32, v228, v230, s[78:79]                // 000000007664: D1000020 013BCDE4
	v_cmp_u_f32_e64 s[78:79], v67, v67                         // 00000000766C: D048004E 00028743
	v_add3_u32 v228, v67, v231, 1                              // 000000007674: D1FF00E4 0207CF43
	v_cndmask_b32_e64 v33, v228, v230, s[78:79]                // 00000000767C: D1000021 013BCDE4
	v_perm_b32 v171, v33, v32, s64                             // 000000007684: D1ED00AB 01024121
	v_cmp_u_f32_e64 s[78:79], v68, v68                         // 00000000768C: D048004E 00028944
	v_add3_u32 v228, v68, v231, 1                              // 000000007694: D1FF00E4 0207CF44
	v_cndmask_b32_e64 v32, v228, v230, s[78:79]                // 00000000769C: D1000020 013BCDE4
	v_cmp_u_f32_e64 s[78:79], v69, v69                         // 0000000076A4: D048004E 00028B45
	v_add3_u32 v228, v69, v231, 1                              // 0000000076AC: D1FF00E4 0207CF45
	v_cndmask_b32_e64 v33, v228, v230, s[78:79]                // 0000000076B4: D1000021 013BCDE4
	v_perm_b32 v172, v33, v32, s64                             // 0000000076BC: D1ED00AC 01024121
	v_cmp_u_f32_e64 s[78:79], v70, v70                         // 0000000076C4: D048004E 00028D46
	v_add3_u32 v228, v70, v231, 1                              // 0000000076CC: D1FF00E4 0207CF46
	v_cndmask_b32_e64 v32, v228, v230, s[78:79]                // 0000000076D4: D1000020 013BCDE4
	v_cmp_u_f32_e64 s[78:79], v71, v71                         // 0000000076DC: D048004E 00028F47
	v_add3_u32 v228, v71, v231, 1                              // 0000000076E4: D1FF00E4 0207CF47
	v_cndmask_b32_e64 v33, v228, v230, s[78:79]                // 0000000076EC: D1000021 013BCDE4
	v_perm_b32 v173, v33, v32, s64                             // 0000000076F4: D1ED00AD 01024121
	v_cmp_u_f32_e64 s[78:79], v72, v72                         // 0000000076FC: D048004E 00029148
	v_add3_u32 v228, v72, v231, 1                              // 000000007704: D1FF00E4 0207CF48
	v_cndmask_b32_e64 v32, v228, v230, s[78:79]                // 00000000770C: D1000020 013BCDE4
	v_cmp_u_f32_e64 s[78:79], v73, v73                         // 000000007714: D048004E 00029349
	v_add3_u32 v228, v73, v231, 1                              // 00000000771C: D1FF00E4 0207CF49
	v_cndmask_b32_e64 v33, v228, v230, s[78:79]                // 000000007724: D1000021 013BCDE4
	v_perm_b32 v174, v33, v32, s64                             // 00000000772C: D1ED00AE 01024121
	v_cmp_u_f32_e64 s[78:79], v74, v74                         // 000000007734: D048004E 0002954A
	v_add3_u32 v228, v74, v231, 1                              // 00000000773C: D1FF00E4 0207CF4A
	v_cndmask_b32_e64 v32, v228, v230, s[78:79]                // 000000007744: D1000020 013BCDE4
	v_cmp_u_f32_e64 s[78:79], v75, v75                         // 00000000774C: D048004E 0002974B
	v_add3_u32 v228, v75, v231, 1                              // 000000007754: D1FF00E4 0207CF4B
	v_cndmask_b32_e64 v33, v228, v230, s[78:79]                // 00000000775C: D1000021 013BCDE4
	v_perm_b32 v175, v33, v32, s64                             // 000000007764: D1ED00AF 01024121
	v_mfma_f32_16x16x16_bf16 v[96:99], v[120:121], a[92:93], v[96:99]// 00000000776C: D3E10060 1582B978
	v_add_u32_e32 v6, s66, v6                                  // 000000007774: 680C0C42
	v_add_u32_e32 v7, s66, v7                                  // 000000007778: 680E0E42
	v_add_u32_e32 v8, s66, v8                                  // 00000000777C: 68101042
	v_add_u32_e32 v9, s66, v9                                  // 000000007780: 68121242
	v_mfma_f32_16x16x16_bf16 v[96:99], v[122:123], a[94:95], v[96:99]// 000000007784: D3E10060 1582BD7A
	s_waitcnt lgkmcnt(0)                                       // 00000000778C: BF8CC07F
	s_barrier                                                  // 000000007790: BF8A0000
	v_mfma_f32_16x16x16_bf16 v[180:183], v[124:125], v[164:165], v[180:183]// 000000007794: D3E100B4 06D3497C
	v_subrev_f32_dpp v76, v176, v76 quad_perm:[0,0,0,0] row_mask:0xf bank_mask:0xf// 00000000779C: 069898FA FF0000B0
	v_subrev_f32_dpp v77, v176, v77 quad_perm:[1,1,1,1] row_mask:0xf bank_mask:0xf// 0000000077A4: 069A9AFA FF0055B0
	v_subrev_f32_dpp v78, v176, v78 quad_perm:[2,2,2,2] row_mask:0xf bank_mask:0xf// 0000000077AC: 069C9CFA FF00AAB0
	v_subrev_f32_dpp v79, v176, v79 quad_perm:[3,3,3,3] row_mask:0xf bank_mask:0xf// 0000000077B4: 069E9EFA FF00FFB0
	v_subrev_f32_dpp v80, v176, v80 quad_perm:[0,0,0,0] row_mask:0xf bank_mask:0xf// 0000000077BC: 06A0A0FA FF0000B0
	v_subrev_f32_dpp v81, v176, v81 quad_perm:[1,1,1,1] row_mask:0xf bank_mask:0xf// 0000000077C4: 06A2A2FA FF0055B0
	v_mfma_f32_16x16x16_bf16 v[184:187], v[126:127], v[164:165], v[184:187]// 0000000077CC: D3E100B8 06E3497E
	v_subrev_f32_dpp v82, v176, v82 quad_perm:[2,2,2,2] row_mask:0xf bank_mask:0xf// 0000000077D4: 06A4A4FA FF00AAB0
	v_subrev_f32_dpp v83, v176, v83 quad_perm:[3,3,3,3] row_mask:0xf bank_mask:0xf// 0000000077DC: 06A6A6FA FF00FFB0
	v_subrev_f32_dpp v84, v176, v84 quad_perm:[0,0,0,0] row_mask:0xf bank_mask:0xf// 0000000077E4: 06A8A8FA FF0000B0
	v_subrev_f32_dpp v85, v176, v85 quad_perm:[1,1,1,1] row_mask:0xf bank_mask:0xf// 0000000077EC: 06AAAAFA FF0055B0
	v_subrev_f32_dpp v86, v176, v86 quad_perm:[2,2,2,2] row_mask:0xf bank_mask:0xf// 0000000077F4: 06ACACFA FF00AAB0
	v_subrev_f32_dpp v87, v176, v87 quad_perm:[3,3,3,3] row_mask:0xf bank_mask:0xf// 0000000077FC: 06AEAEFA FF00FFB0
	v_mfma_f32_16x16x16_bf16 v[188:191], v[128:129], v[164:165], v[188:191]// 000000007804: D3E100BC 06F34980
	v_mul_f32_e32 v76, v52, v76                                // 00000000780C: 0A989934
	v_mul_f32_e32 v77, v53, v77                                // 000000007810: 0A9A9B35
	v_mul_f32_e32 v78, v54, v78                                // 000000007814: 0A9C9D36
	v_mul_f32_e32 v79, v55, v79                                // 000000007818: 0A9E9F37
	v_mul_f32_e32 v80, v56, v80                                // 00000000781C: 0AA0A138
	v_mul_f32_e32 v81, v57, v81                                // 000000007820: 0AA2A339
	v_mfma_f32_16x16x16_bf16 v[192:195], v[130:131], v[164:165], v[192:195]// 000000007824: D3E100C0 07034982
	v_mul_f32_e32 v82, v58, v82                                // 00000000782C: 0AA4A53A
	v_mul_f32_e32 v83, v59, v83                                // 000000007830: 0AA6A73B
	v_mul_f32_e32 v84, v60, v84                                // 000000007834: 0AA8A93C
	v_mul_f32_e32 v85, v61, v85                                // 000000007838: 0AAAAB3D
	v_mul_f32_e32 v86, v62, v86                                // 00000000783C: 0AACAD3E
	v_mul_f32_e32 v87, v63, v87                                // 000000007840: 0AAEAF3F
	v_mfma_f32_16x16x16_bf16 v[196:199], v[124:125], v[166:167], v[196:199]// 000000007844: D3E100C4 07134D7C
	v_cmp_u_f32_e64 s[78:79], v76, v76                         // 00000000784C: D048004E 0002994C
	v_add3_u32 v228, v76, v231, 1                              // 000000007854: D1FF00E4 0207CF4C
	v_cndmask_b32_e64 v32, v228, v230, s[78:79]                // 00000000785C: D1000020 013BCDE4
	v_cmp_u_f32_e64 s[78:79], v77, v77                         // 000000007864: D048004E 00029B4D
	v_add3_u32 v228, v77, v231, 1                              // 00000000786C: D1FF00E4 0207CF4D
	v_cndmask_b32_e64 v33, v228, v230, s[78:79]                // 000000007874: D1000021 013BCDE4
	v_perm_b32 v76, v33, v32, s64                              // 00000000787C: D1ED004C 01024121
	v_cmp_u_f32_e64 s[78:79], v78, v78                         // 000000007884: D048004E 00029D4E
	v_add3_u32 v228, v78, v231, 1                              // 00000000788C: D1FF00E4 0207CF4E
	v_cndmask_b32_e64 v32, v228, v230, s[78:79]                // 000000007894: D1000020 013BCDE4
	v_cmp_u_f32_e64 s[78:79], v79, v79                         // 00000000789C: D048004E 00029F4F
	v_add3_u32 v228, v79, v231, 1                              // 0000000078A4: D1FF00E4 0207CF4F
	v_cndmask_b32_e64 v33, v228, v230, s[78:79]                // 0000000078AC: D1000021 013BCDE4
	v_perm_b32 v77, v33, v32, s64                              // 0000000078B4: D1ED004D 01024121
	v_cmp_u_f32_e64 s[78:79], v80, v80                         // 0000000078BC: D048004E 0002A150
	v_add3_u32 v228, v80, v231, 1                              // 0000000078C4: D1FF00E4 0207CF50
	v_cndmask_b32_e64 v32, v228, v230, s[78:79]                // 0000000078CC: D1000020 013BCDE4
	v_cmp_u_f32_e64 s[78:79], v81, v81                         // 0000000078D4: D048004E 0002A351
	v_add3_u32 v228, v81, v231, 1                              // 0000000078DC: D1FF00E4 0207CF51
	v_cndmask_b32_e64 v33, v228, v230, s[78:79]                // 0000000078E4: D1000021 013BCDE4
	v_perm_b32 v78, v33, v32, s64                              // 0000000078EC: D1ED004E 01024121
	v_cmp_u_f32_e64 s[78:79], v82, v82                         // 0000000078F4: D048004E 0002A552
	v_add3_u32 v228, v82, v231, 1                              // 0000000078FC: D1FF00E4 0207CF52
	v_cndmask_b32_e64 v32, v228, v230, s[78:79]                // 000000007904: D1000020 013BCDE4
	v_cmp_u_f32_e64 s[78:79], v83, v83                         // 00000000790C: D048004E 0002A753
	v_add3_u32 v228, v83, v231, 1                              // 000000007914: D1FF00E4 0207CF53
	v_cndmask_b32_e64 v33, v228, v230, s[78:79]                // 00000000791C: D1000021 013BCDE4
	v_perm_b32 v79, v33, v32, s64                              // 000000007924: D1ED004F 01024121
	v_cmp_u_f32_e64 s[78:79], v84, v84                         // 00000000792C: D048004E 0002A954
	v_add3_u32 v228, v84, v231, 1                              // 000000007934: D1FF00E4 0207CF54
	v_cndmask_b32_e64 v32, v228, v230, s[78:79]                // 00000000793C: D1000020 013BCDE4
	v_cmp_u_f32_e64 s[78:79], v85, v85                         // 000000007944: D048004E 0002AB55
	v_add3_u32 v228, v85, v231, 1                              // 00000000794C: D1FF00E4 0207CF55
	v_cndmask_b32_e64 v33, v228, v230, s[78:79]                // 000000007954: D1000021 013BCDE4
	v_perm_b32 v80, v33, v32, s64                              // 00000000795C: D1ED0050 01024121
	v_cmp_u_f32_e64 s[78:79], v86, v86                         // 000000007964: D048004E 0002AD56
	v_add3_u32 v228, v86, v231, 1                              // 00000000796C: D1FF00E4 0207CF56
	v_cndmask_b32_e64 v32, v228, v230, s[78:79]                // 000000007974: D1000020 013BCDE4
	v_cmp_u_f32_e64 s[78:79], v87, v87                         // 00000000797C: D048004E 0002AF57
	v_add3_u32 v228, v87, v231, 1                              // 000000007984: D1FF00E4 0207CF57
	v_cndmask_b32_e64 v33, v228, v230, s[78:79]                // 00000000798C: D1000021 013BCDE4
	v_perm_b32 v81, v33, v32, s64                              // 000000007994: D1ED0051 01024121
	v_mfma_f32_16x16x16_bf16 v[200:203], v[126:127], v[166:167], v[200:203]// 00000000799C: D3E100C8 07234D7E
	v_mov_b32_dpp v18, v76 quad_perm:[1,0,3,2] row_mask:0xf bank_mask:0xf// 0000000079A4: 7E2402FA FF00B14C
	v_perm_b32 v52, v18, v76, v17                              // 0000000079AC: D1ED0034 04469912
	v_mov_b32_dpp v18, v77 quad_perm:[1,0,3,2] row_mask:0xf bank_mask:0xf// 0000000079B4: 7E2402FA FF00B14D
	v_perm_b32 v53, v18, v77, v17                              // 0000000079BC: D1ED0035 04469B12
	v_mov_b32_dpp v18, v78 quad_perm:[1,0,3,2] row_mask:0xf bank_mask:0xf// 0000000079C4: 7E2402FA FF00B14E
	v_perm_b32 v54, v18, v78, v17                              // 0000000079CC: D1ED0036 04469D12
	v_mfma_f32_16x16x16_bf16 v[204:207], v[128:129], v[166:167], v[204:207]// 0000000079D4: D3E100CC 07334D80
	v_mov_b32_dpp v18, v79 quad_perm:[1,0,3,2] row_mask:0xf bank_mask:0xf// 0000000079DC: 7E2402FA FF00B14F
	v_perm_b32 v55, v18, v79, v17                              // 0000000079E4: D1ED0037 04469F12
	v_mov_b32_dpp v18, v80 quad_perm:[1,0,3,2] row_mask:0xf bank_mask:0xf// 0000000079EC: 7E2402FA FF00B150
	v_perm_b32 v56, v18, v80, v17                              // 0000000079F4: D1ED0038 0446A112
	v_mov_b32_dpp v18, v81 quad_perm:[1,0,3,2] row_mask:0xf bank_mask:0xf// 0000000079FC: 7E2402FA FF00B151
	v_perm_b32 v57, v18, v81, v17                              // 000000007A04: D1ED0039 0446A312
	v_mfma_f32_16x16x16_bf16 v[208:211], v[130:131], v[166:167], v[208:211]// 000000007A0C: D3E100D0 07434D82
	ds_write_b32 v20, v52 offset:17408                         // 000000007A14: D81A4400 00003414
	ds_write_b32 v20, v53 offset:17952                         // 000000007A1C: D81A4620 00003514
	v_mfma_f32_16x16x16_bf16 v[212:215], v[124:125], v[168:169], v[212:215]// 000000007A24: D3E100D4 0753517C
	v_subrev_f32_dpp v88, v177, v88 quad_perm:[0,0,0,0] row_mask:0xf bank_mask:0xf// 000000007A2C: 06B0B0FA FF0000B1
	v_subrev_f32_dpp v89, v177, v89 quad_perm:[1,1,1,1] row_mask:0xf bank_mask:0xf// 000000007A34: 06B2B2FA FF0055B1
	v_subrev_f32_dpp v90, v177, v90 quad_perm:[2,2,2,2] row_mask:0xf bank_mask:0xf// 000000007A3C: 06B4B4FA FF00AAB1
	v_subrev_f32_dpp v91, v177, v91 quad_perm:[3,3,3,3] row_mask:0xf bank_mask:0xf// 000000007A44: 06B6B6FA FF00FFB1
	v_subrev_f32_dpp v92, v177, v92 quad_perm:[0,0,0,0] row_mask:0xf bank_mask:0xf// 000000007A4C: 06B8B8FA FF0000B1
	v_subrev_f32_dpp v93, v177, v93 quad_perm:[1,1,1,1] row_mask:0xf bank_mask:0xf// 000000007A54: 06BABAFA FF0055B1
	v_mfma_f32_16x16x16_bf16 v[216:219], v[126:127], v[168:169], v[216:219]// 000000007A5C: D3E100D8 0763517E
	ds_write_b32 v20, v54 offset:19712                         // 000000007A64: D81A4D00 00003614
	ds_write_b32 v20, v55 offset:20256                         // 000000007A6C: D81A4F20 00003714
	v_mfma_f32_16x16x16_bf16 v[220:223], v[128:129], v[168:169], v[220:223]// 000000007A74: D3E100DC 07735180
	v_subrev_f32_dpp v94, v177, v94 quad_perm:[2,2,2,2] row_mask:0xf bank_mask:0xf// 000000007A7C: 06BCBCFA FF00AAB1
	v_subrev_f32_dpp v95, v177, v95 quad_perm:[3,3,3,3] row_mask:0xf bank_mask:0xf// 000000007A84: 06BEBEFA FF00FFB1
	v_subrev_f32_dpp v96, v177, v96 quad_perm:[0,0,0,0] row_mask:0xf bank_mask:0xf// 000000007A8C: 06C0C0FA FF0000B1
	v_subrev_f32_dpp v97, v177, v97 quad_perm:[1,1,1,1] row_mask:0xf bank_mask:0xf// 000000007A94: 06C2C2FA FF0055B1
	v_subrev_f32_dpp v98, v177, v98 quad_perm:[2,2,2,2] row_mask:0xf bank_mask:0xf// 000000007A9C: 06C4C4FA FF00AAB1
	v_subrev_f32_dpp v99, v177, v99 quad_perm:[3,3,3,3] row_mask:0xf bank_mask:0xf// 000000007AA4: 06C6C6FA FF00FFB1
	v_mfma_f32_16x16x16_bf16 v[224:227], v[130:131], v[168:169], v[224:227]// 000000007AAC: D3E100E0 07835182
	ds_write_b32 v20, v56 offset:22016                         // 000000007AB4: D81A5600 00003814
	ds_write_b32 v20, v57 offset:22560                         // 000000007ABC: D81A5820 00003914
	v_mfma_f32_16x16x16_bf16 v[180:183], v[132:133], v[170:171], v[180:183]// 000000007AC4: D3E100B4 06D35584
	v_mul_f32_e32 v88, v64, v88                                // 000000007ACC: 0AB0B140
	v_mul_f32_e32 v89, v65, v89                                // 000000007AD0: 0AB2B341
	v_mul_f32_e32 v90, v66, v90                                // 000000007AD4: 0AB4B542
	v_mul_f32_e32 v91, v67, v91                                // 000000007AD8: 0AB6B743
	v_mul_f32_e32 v92, v68, v92                                // 000000007ADC: 0AB8B944
	v_mul_f32_e32 v93, v69, v93                                // 000000007AE0: 0ABABB45
	v_mfma_f32_16x16x16_bf16 v[184:187], v[134:135], v[170:171], v[184:187]// 000000007AE4: D3E100B8 06E35586
	v_mul_f32_e32 v94, v70, v94                                // 000000007AEC: 0ABCBD46
	v_mul_f32_e32 v95, v71, v95                                // 000000007AF0: 0ABEBF47
	v_mul_f32_e32 v96, v72, v96                                // 000000007AF4: 0AC0C148
	v_mul_f32_e32 v97, v73, v97                                // 000000007AF8: 0AC2C349
	v_mul_f32_e32 v98, v74, v98                                // 000000007AFC: 0AC4C54A
	v_mul_f32_e32 v99, v75, v99                                // 000000007B00: 0AC6C74B
	v_mfma_f32_16x16x16_bf16 v[188:191], v[136:137], v[170:171], v[188:191]// 000000007B04: D3E100BC 06F35588
	v_cmp_u_f32_e64 s[78:79], v88, v88                         // 000000007B0C: D048004E 0002B158
	v_add3_u32 v228, v88, v231, 1                              // 000000007B14: D1FF00E4 0207CF58
	v_cndmask_b32_e64 v32, v228, v230, s[78:79]                // 000000007B1C: D1000020 013BCDE4
	v_cmp_u_f32_e64 s[78:79], v89, v89                         // 000000007B24: D048004E 0002B359
	v_add3_u32 v228, v89, v231, 1                              // 000000007B2C: D1FF00E4 0207CF59
	v_cndmask_b32_e64 v33, v228, v230, s[78:79]                // 000000007B34: D1000021 013BCDE4
	v_perm_b32 v82, v33, v32, s64                              // 000000007B3C: D1ED0052 01024121
	v_cmp_u_f32_e64 s[78:79], v90, v90                         // 000000007B44: D048004E 0002B55A
	v_add3_u32 v228, v90, v231, 1                              // 000000007B4C: D1FF00E4 0207CF5A
	v_cndmask_b32_e64 v32, v228, v230, s[78:79]                // 000000007B54: D1000020 013BCDE4
	v_cmp_u_f32_e64 s[78:79], v91, v91                         // 000000007B5C: D048004E 0002B75B
	v_add3_u32 v228, v91, v231, 1                              // 000000007B64: D1FF00E4 0207CF5B
	v_cndmask_b32_e64 v33, v228, v230, s[78:79]                // 000000007B6C: D1000021 013BCDE4
	v_perm_b32 v83, v33, v32, s64                              // 000000007B74: D1ED0053 01024121
	v_cmp_u_f32_e64 s[78:79], v92, v92                         // 000000007B7C: D048004E 0002B95C
	v_add3_u32 v228, v92, v231, 1                              // 000000007B84: D1FF00E4 0207CF5C
	v_cndmask_b32_e64 v32, v228, v230, s[78:79]                // 000000007B8C: D1000020 013BCDE4
	v_cmp_u_f32_e64 s[78:79], v93, v93                         // 000000007B94: D048004E 0002BB5D
	v_add3_u32 v228, v93, v231, 1                              // 000000007B9C: D1FF00E4 0207CF5D
	v_cndmask_b32_e64 v33, v228, v230, s[78:79]                // 000000007BA4: D1000021 013BCDE4
	v_perm_b32 v84, v33, v32, s64                              // 000000007BAC: D1ED0054 01024121
	v_cmp_u_f32_e64 s[78:79], v94, v94                         // 000000007BB4: D048004E 0002BD5E
	v_add3_u32 v228, v94, v231, 1                              // 000000007BBC: D1FF00E4 0207CF5E
	v_cndmask_b32_e64 v32, v228, v230, s[78:79]                // 000000007BC4: D1000020 013BCDE4
	v_cmp_u_f32_e64 s[78:79], v95, v95                         // 000000007BCC: D048004E 0002BF5F
	v_add3_u32 v228, v95, v231, 1                              // 000000007BD4: D1FF00E4 0207CF5F
	v_cndmask_b32_e64 v33, v228, v230, s[78:79]                // 000000007BDC: D1000021 013BCDE4
	v_perm_b32 v85, v33, v32, s64                              // 000000007BE4: D1ED0055 01024121
	v_cmp_u_f32_e64 s[78:79], v96, v96                         // 000000007BEC: D048004E 0002C160
	v_add3_u32 v228, v96, v231, 1                              // 000000007BF4: D1FF00E4 0207CF60
	v_cndmask_b32_e64 v32, v228, v230, s[78:79]                // 000000007BFC: D1000020 013BCDE4
	v_cmp_u_f32_e64 s[78:79], v97, v97                         // 000000007C04: D048004E 0002C361
	v_add3_u32 v228, v97, v231, 1                              // 000000007C0C: D1FF00E4 0207CF61
	v_cndmask_b32_e64 v33, v228, v230, s[78:79]                // 000000007C14: D1000021 013BCDE4
	v_perm_b32 v86, v33, v32, s64                              // 000000007C1C: D1ED0056 01024121
	v_cmp_u_f32_e64 s[78:79], v98, v98                         // 000000007C24: D048004E 0002C562
	v_add3_u32 v228, v98, v231, 1                              // 000000007C2C: D1FF00E4 0207CF62
	v_cndmask_b32_e64 v32, v228, v230, s[78:79]                // 000000007C34: D1000020 013BCDE4
	v_cmp_u_f32_e64 s[78:79], v99, v99                         // 000000007C3C: D048004E 0002C763
	v_add3_u32 v228, v99, v231, 1                              // 000000007C44: D1FF00E4 0207CF63
	v_cndmask_b32_e64 v33, v228, v230, s[78:79]                // 000000007C4C: D1000021 013BCDE4
	v_perm_b32 v87, v33, v32, s64                              // 000000007C54: D1ED0057 01024121
	v_mfma_f32_16x16x16_bf16 v[192:195], v[138:139], v[170:171], v[192:195]// 000000007C5C: D3E100C0 0703558A
	v_mov_b32_dpp v18, v82 quad_perm:[1,0,3,2] row_mask:0xf bank_mask:0xf// 000000007C64: 7E2402FA FF00B152
	v_perm_b32 v58, v18, v82, v17                              // 000000007C6C: D1ED003A 0446A512
	v_mov_b32_dpp v18, v83 quad_perm:[1,0,3,2] row_mask:0xf bank_mask:0xf// 000000007C74: 7E2402FA FF00B153
	v_perm_b32 v59, v18, v83, v17                              // 000000007C7C: D1ED003B 0446A712
	v_mov_b32_dpp v18, v84 quad_perm:[1,0,3,2] row_mask:0xf bank_mask:0xf// 000000007C84: 7E2402FA FF00B154
	v_perm_b32 v60, v18, v84, v17                              // 000000007C8C: D1ED003C 0446A912
	v_mfma_f32_16x16x16_bf16 v[196:199], v[132:133], v[172:173], v[196:199]// 000000007C94: D3E100C4 07135984
	v_mov_b32_dpp v18, v85 quad_perm:[1,0,3,2] row_mask:0xf bank_mask:0xf// 000000007C9C: 7E2402FA FF00B155
	v_perm_b32 v61, v18, v85, v17                              // 000000007CA4: D1ED003D 0446AB12
	v_mov_b32_dpp v18, v86 quad_perm:[1,0,3,2] row_mask:0xf bank_mask:0xf// 000000007CAC: 7E2402FA FF00B156
	v_perm_b32 v62, v18, v86, v17                              // 000000007CB4: D1ED003E 0446AD12
	v_mov_b32_dpp v18, v87 quad_perm:[1,0,3,2] row_mask:0xf bank_mask:0xf// 000000007CBC: 7E2402FA FF00B157
	v_perm_b32 v63, v18, v87, v17                              // 000000007CC4: D1ED003F 0446AF12
	v_mfma_f32_16x16x16_bf16 v[200:203], v[134:135], v[172:173], v[200:203]// 000000007CCC: D3E100C8 07235986
	ds_write_b32 v20, v58 offset:24320                         // 000000007CD4: D81A5F00 00003A14
	ds_write_b32 v20, v59 offset:24864                         // 000000007CDC: D81A6120 00003B14
	v_mfma_f32_16x16x16_bf16 v[204:207], v[136:137], v[172:173], v[204:207]// 000000007CE4: D3E100CC 07335988
	v_mfma_f32_16x16x16_bf16 v[208:211], v[138:139], v[172:173], v[208:211]// 000000007CEC: D3E100D0 0743598A
	ds_write_b32 v20, v60 offset:26624                         // 000000007CF4: D81A6800 00003C14
	ds_write_b32 v20, v61 offset:27168                         // 000000007CFC: D81A6A20 00003D14
	ds_write_b32 v20, v62 offset:28928                         // 000000007D04: D81A7100 00003E14
	ds_write_b32 v20, v63 offset:29472                         // 000000007D0C: D81A7320 00003F14
	v_mfma_f32_16x16x16_bf16 v[212:215], v[132:133], v[174:175], v[212:215]// 000000007D14: D3E100D4 07535D84
	v_mfma_f32_16x16x16_bf16 v[216:219], v[134:135], v[174:175], v[216:219]// 000000007D1C: D3E100D8 07635D86
	ds_write_b32 v15, v100 offset:4352                         // 000000007D24: D81A1100 0000640F
	ds_write_b32 v15, v101 offset:5408                         // 000000007D2C: D81A1520 0000650F
	v_mfma_f32_16x16x16_bf16 v[220:223], v[136:137], v[174:175], v[220:223]// 000000007D34: D3E100DC 07735D88
	s_nop 0                                                    // 000000007D3C: BF800000
	s_nop 0                                                    // 000000007D40: BF800000
	s_nop 0                                                    // 000000007D44: BF800000
	v_mfma_f32_16x16x16_bf16 v[224:227], v[138:139], v[174:175], v[224:227]// 000000007D48: D3E100E0 07835D8A
	ds_write_b32 v15, v102 offset:6528                         // 000000007D50: D81A1980 0000660F
	ds_write_b32 v15, v103 offset:7584                         // 000000007D58: D81A1DA0 0000670F
	s_barrier                                                  // 000000007D60: BF8A0000
	v_mfma_f32_16x16x16_bf16 a[112:115], a[96:97], v[76:77], a[112:115]// 000000007D64: D3E18070 0DC29960
	buffer_atomic_add_f32 v156, v6, s[32:35], 0 idxen          // 000000007D6C: E1342000 80089C06
	v_mfma_f32_16x16x16_bf16 a[116:119], a[98:99], v[76:77], a[116:119]// 000000007D74: D3E18074 0DD29962
	ds_read_b32 v140, v23 offset:39424                         // 000000007D7C: D86C9A00 8C000017
	ds_read_b32 v144, v23 offset:39488                         // 000000007D84: D86C9A40 90000017
	ds_read_b32 v176, v23 offset:39680                         // 000000007D8C: D86C9B00 B0000017
	ds_read_b32 v177, v23 offset:39744                         // 000000007D94: D86C9B40 B1000017
	v_mfma_f32_16x16x16_bf16 a[120:123], a[100:101], v[76:77], a[120:123]// 000000007D9C: D3E18078 0DE29964
	s_waitcnt lgkmcnt(8)                                       // 000000007DA4: BF8CC87F
	s_barrier                                                  // 000000007DA8: BF8A0000
	v_mfma_f32_16x16x16_bf16 a[124:127], a[102:103], v[76:77], a[124:127]// 000000007DAC: D3E1807C 0DF29966
	ds_read_b128 v[52:55], v19 offset:17408                    // 000000007DB4: D9FE4400 34000013
	v_mfma_f32_16x16x16_bf16 a[128:131], a[96:97], v[78:79], a[128:131]// 000000007DBC: D3E18080 0E029D60
	v_mfma_f32_16x16x16_bf16 a[132:135], a[98:99], v[78:79], a[132:135]// 000000007DC4: D3E18084 0E129D62
	ds_read_b128 v[56:59], v19 offset:18560                    // 000000007DCC: D9FE4880 38000013
	v_mfma_f32_16x16x16_bf16 a[136:139], a[100:101], v[78:79], a[136:139]// 000000007DD4: D3E18088 0E229D64
	buffer_atomic_add_f32 v157, v7, s[32:35], 0 idxen          // 000000007DDC: E1342000 80089D07
	v_mfma_f32_16x16x16_bf16 a[140:143], a[102:103], v[78:79], a[140:143]// 000000007DE4: D3E1808C 0E329D66
	ds_read_b128 v[60:63], v19 offset:19712                    // 000000007DEC: D9FE4D00 3C000013
	v_mfma_f32_16x16x16_bf16 a[144:147], a[96:97], v[80:81], a[144:147]// 000000007DF4: D3E18090 0E42A160
	v_mfma_f32_16x16x16_bf16 a[148:151], a[98:99], v[80:81], a[148:151]// 000000007DFC: D3E18094 0E52A162
	ds_read_b128 v[64:67], v19 offset:20864                    // 000000007E04: D9FE5180 40000013
	v_mfma_f32_16x16x16_bf16 a[152:155], a[100:101], v[80:81], a[152:155]// 000000007E0C: D3E18098 0E62A164
	v_mfma_f32_16x16x16_bf16 a[156:159], a[102:103], v[80:81], a[156:159]// 000000007E14: D3E1809C 0E72A166
	ds_read_b128 v[68:71], v19 offset:22016                    // 000000007E1C: D9FE5600 44000013
	v_mfma_f32_16x16x16_bf16 a[112:115], a[104:105], v[82:83], a[112:115]// 000000007E24: D3E18070 0DC2A568
	buffer_atomic_add_f32 v158, v6, s[32:35], 0 idxen offset:128// 000000007E2C: E1342080 80089E06
	v_mfma_f32_16x16x16_bf16 a[116:119], a[106:107], v[82:83], a[116:119]// 000000007E34: D3E18074 0DD2A56A
	ds_read_b128 v[72:75], v19 offset:23168                    // 000000007E3C: D9FE5A80 48000013
	v_mfma_f32_16x16x16_bf16 a[120:123], a[108:109], v[82:83], a[120:123]// 000000007E44: D3E18078 0DE2A56C
	v_mfma_f32_16x16x16_bf16 a[124:127], a[110:111], v[82:83], a[124:127]// 000000007E4C: D3E1807C 0DF2A56E
	ds_write_b32 v15, v104 offset:13056                        // 000000007E54: D81A3300 0000680F
	v_mfma_f32_16x16x16_bf16 a[128:131], a[104:105], v[84:85], a[128:131]// 000000007E5C: D3E18080 0E02A968
	v_mfma_f32_16x16x16_bf16 a[132:135], a[106:107], v[84:85], a[132:135]// 000000007E64: D3E18084 0E12A96A
	ds_write_b32 v15, v105 offset:14112                        // 000000007E6C: D81A3720 0000690F
	v_mfma_f32_16x16x16_bf16 a[136:139], a[108:109], v[84:85], a[136:139]// 000000007E74: D3E18088 0E22A96C
	buffer_atomic_add_f32 v159, v7, s[32:35], 0 idxen offset:128// 000000007E7C: E1342080 80089F07
	v_mfma_f32_16x16x16_bf16 a[140:143], a[110:111], v[84:85], a[140:143]// 000000007E84: D3E1808C 0E32A96E
	ds_write_b32 v15, v106 offset:15232                        // 000000007E8C: D81A3B80 00006A0F
	v_mfma_f32_16x16x16_bf16 a[144:147], a[104:105], v[86:87], a[144:147]// 000000007E94: D3E18090 0E42AD68
	v_mfma_f32_16x16x16_bf16 a[148:151], a[106:107], v[86:87], a[148:151]// 000000007E9C: D3E18094 0E52AD6A
	ds_write_b32 v15, v107 offset:16288                        // 000000007EA4: D81A3FA0 00006B0F
	v_mfma_f32_16x16x16_bf16 a[152:155], a[108:109], v[86:87], a[152:155]// 000000007EAC: D3E18098 0E62AD6C
	v_mfma_f32_16x16x16_bf16 a[156:159], a[110:111], v[86:87], a[156:159]// 000000007EB4: D3E1809C 0E72AD6E
	s_waitcnt vmcnt(8) lgkmcnt(4)                              // 000000007EBC: BF8C0478
	s_barrier                                                  // 000000007EC0: BF8A0000
	v_mfma_f32_16x16x16_bf16 v[148:151], v[52:53], a[24:25], 0 // 000000007EC4: D3E10094 12023134
	v_mul_f32_e32 v140, s48, v140                              // 000000007ECC: 0B191830
	v_mul_f32_e32 v144, s48, v144                              // 000000007ED0: 0B212030
	s_nop 0                                                    // 000000007ED4: BF800000
	v_mfma_f32_16x16x16_bf16 v[148:151], v[54:55], a[28:29], v[148:151]// 000000007ED8: D3E10094 16523936
	ds_read_b128 a[96:99], v12                                 // 000000007EE0: DBFE0000 6000000C
	buffer_load_dword v36, v1, s[8:11], 0 idxen                // 000000007EE8: E0502000 80022401
	v_mfma_f32_16x16x16_bf16 v[148:151], v[56:57], a[32:33], v[148:151]// 000000007EF0: D3E10094 16524138
	v_mfma_f32_16x16x16_bf16 v[148:151], v[58:59], a[36:37], v[148:151]// 000000007EF8: D3E10094 1652493A
	ds_read_b128 a[100:103], v12 offset:512                    // 000000007F00: DBFE0200 6400000C
	buffer_load_dword v37, v2, s[8:11], 0 idxen                // 000000007F08: E0502000 80022502
	v_mfma_f32_16x16x16_bf16 v[148:151], v[60:61], a[40:41], v[148:151]// 000000007F10: D3E10094 1652513C
	v_perm_b32 v100, v41, v40, s63                             // 000000007F18: D1ED0064 00FE5129
	v_perm_b32 v101, v41, v40, s64                             // 000000007F20: D1ED0065 01025129
	v_mfma_f32_16x16x16_bf16 v[148:151], v[62:63], a[44:45], v[148:151]// 000000007F28: D3E10094 1652593E
	ds_read_b128 a[104:107], v12 offset:2176                   // 000000007F30: DBFE0880 6800000C
	buffer_load_dword v38, v3, s[8:11], 0 idxen                // 000000007F38: E0502000 80022603
	v_mfma_f32_16x16x16_bf16 v[148:151], v[64:65], a[48:49], v[148:151]// 000000007F40: D3E10094 16526140
	v_perm_b32 v102, v43, v42, s63                             // 000000007F48: D1ED0066 00FE552B
	v_perm_b32 v103, v43, v42, s64                             // 000000007F50: D1ED0067 0102552B
	v_mfma_f32_16x16x16_bf16 v[148:151], v[66:67], a[52:53], v[148:151]// 000000007F58: D3E10094 16526942
	ds_read_b128 a[108:111], v12 offset:2688                   // 000000007F60: DBFE0A80 6C00000C
	buffer_load_dword v39, v4, s[8:11], 0 idxen                // 000000007F68: E0502000 80022704
	v_mfma_f32_16x16x16_bf16 v[148:151], v[68:69], a[56:57], v[148:151]// 000000007F70: D3E10094 16527144
	v_perm_b32 v104, v49, v48, s63                             // 000000007F78: D1ED0068 00FE6131
	v_perm_b32 v105, v49, v48, s64                             // 000000007F80: D1ED0069 01026131
	v_mfma_f32_16x16x16_bf16 v[148:151], v[70:71], a[60:61], v[148:151]// 000000007F88: D3E10094 16527946
	ds_read_b128 v[108:111], v12 offset:8704                   // 000000007F90: D9FE2200 6C00000C
	buffer_load_dword v44, v232, s[20:23], 0 idxen             // 000000007F98: E0502000 80052CE8
	v_mfma_f32_16x16x16_bf16 v[148:151], v[72:73], a[64:65], v[148:151]// 000000007FA0: D3E10094 16528148
	v_perm_b32 v106, v51, v50, s63                             // 000000007FA8: D1ED006A 00FE6533
	v_perm_b32 v107, v51, v50, s64                             // 000000007FB0: D1ED006B 01026533
	v_mfma_f32_16x16x16_bf16 v[148:151], v[74:75], a[68:69], v[148:151]// 000000007FB8: D3E10094 1652894A
	ds_read_b128 v[112:115], v12 offset:9216                   // 000000007FC0: D9FE2400 7000000C
	buffer_load_dword v45, v233, s[20:23], 0 idxen             // 000000007FC8: E0502000 80052DE9
	v_mfma_f32_16x16x16_bf16 v[152:155], v[52:53], a[26:27], 0 // 000000007FD0: D3E10098 12023534
	v_mov_b32_dpp v143, v140 quad_perm:[3,3,3,3] row_mask:0xf bank_mask:0xf// 000000007FD8: 7F1E02FA FF00FF8C
	v_mov_b32_dpp v142, v140 quad_perm:[2,2,2,2] row_mask:0xf bank_mask:0xf// 000000007FE0: 7F1C02FA FF00AA8C
	v_mov_b32_dpp v141, v140 quad_perm:[1,1,1,1] row_mask:0xf bank_mask:0xf// 000000007FE8: 7F1A02FA FF00558C
	v_mov_b32_dpp v140, v140 quad_perm:[0,0,0,0] row_mask:0xf bank_mask:0xf// 000000007FF0: 7F1802FA FF00008C
	v_mfma_f32_16x16x16_bf16 v[152:155], v[54:55], a[30:31], v[152:155]// 000000007FF8: D3E10098 16623D36
	ds_read_b128 v[116:119], v12 offset:10880                  // 000000008000: D9FE2A80 7400000C
	buffer_load_dword v46, v234, s[20:23], 0 idxen             // 000000008008: E0502000 80052EEA
	v_mfma_f32_16x16x16_bf16 v[152:155], v[56:57], a[34:35], v[152:155]// 000000008010: D3E10098 16624538
	v_mov_b32_dpp v147, v144 quad_perm:[3,3,3,3] row_mask:0xf bank_mask:0xf// 000000008018: 7F2602FA FF00FF90
	v_mov_b32_dpp v146, v144 quad_perm:[2,2,2,2] row_mask:0xf bank_mask:0xf// 000000008020: 7F2402FA FF00AA90
	v_mov_b32_dpp v145, v144 quad_perm:[1,1,1,1] row_mask:0xf bank_mask:0xf// 000000008028: 7F2202FA FF005590
	v_mov_b32_dpp v144, v144 quad_perm:[0,0,0,0] row_mask:0xf bank_mask:0xf// 000000008030: 7F2002FA FF000090
	s_add_u32 s60, 0x80, s59                                   // 000000008038: 803C3BFF 00000080
	v_mfma_f32_16x16x16_bf16 v[152:155], v[58:59], a[38:39], v[152:155]// 000000008040: D3E10098 16624D3A
	ds_read_b128 v[120:123], v12 offset:11392                  // 000000008048: D9FE2C80 7800000C
	buffer_load_dword v47, v235, s[20:23], 0 idxen             // 000000008050: E0502000 80052FEB
	v_mfma_f32_16x16x16_bf16 v[152:155], v[60:61], a[42:43], v[152:155]// 000000008058: D3E10098 1662553C
	s_cmp_lt_u32 s60, s58                                      // 000000008060: BF0A3A3C
	s_cselect_b32 s68, s68, 0                                  // 000000008064: 85448044
	s_cselect_b32 s100, s100, 0                                // 000000008068: 85648064
	s_cselect_b32 s69, s69, 0                                  // 00000000806C: 85458045
	v_mfma_f32_16x16x16_bf16 v[152:155], v[62:63], a[46:47], v[152:155]// 000000008070: D3E10098 16625D3E
	buffer_load_dword v11, s[24:27], 0 idxen lds               // 000000008078: E0512000 8006000B
	v_mfma_f32_16x16x16_bf16 v[152:155], v[64:65], a[50:51], v[152:155]// 000000008080: D3E10098 16626540
	v_add_u32_e32 v1, s68, v1                                  // 000000008088: 68020244
	v_add_u32_e32 v2, s68, v2                                  // 00000000808C: 68040444
	v_add_u32_e32 v3, s68, v3                                  // 000000008090: 68060644
	v_add_u32_e32 v4, s68, v4                                  // 000000008094: 68080844
	v_mfma_f32_16x16x16_bf16 v[152:155], v[66:67], a[54:55], v[152:155]// 000000008098: D3E10098 16626D42
	v_add_u32_e32 v232, s100, v232                             // 0000000080A0: 69D1D064
	v_add_u32_e32 v233, s100, v233                             // 0000000080A4: 69D3D264
	v_add_u32_e32 v234, s100, v234                             // 0000000080A8: 69D5D464
	v_add_u32_e32 v235, s100, v235                             // 0000000080AC: 69D7D664
	v_mfma_f32_16x16x16_bf16 v[152:155], v[68:69], a[58:59], v[152:155]// 0000000080B0: D3E10098 16627544
	s_mov_b32 m0, s81                                          // 0000000080B8: BEFC0051
	v_add_u32_e32 v11, s69, v11                                // 0000000080BC: 68161645
	v_mfma_f32_16x16x16_bf16 v[152:155], v[70:71], a[62:63], v[152:155]// 0000000080C0: D3E10098 16627D46
	s_cmp_ge_u32 s59, s73                                      // 0000000080C8: BF09493B
	s_cselect_b32 s66, s67, s66                                // 0000000080CC: 85424243
	v_mfma_f32_16x16x16_bf16 v[152:155], v[72:73], a[66:67], v[152:155]// 0000000080D0: D3E10098 16628548
	s_addk_i32 s59, 0x20                                       // 0000000080D8: B73B0020
	s_nop 0                                                    // 0000000080DC: BF800000
	s_cmp_lt_i32 s59, s58                                      // 0000000080E0: BF043A3B
	v_mfma_f32_16x16x16_bf16 v[152:155], v[74:75], a[70:71], v[152:155]// 0000000080E4: D3E10098 16628D4A
	s_cbranch_scc0 label_104F                                  // 0000000080EC: BF840001
	s_branch label_0674                                        // 0000000080F0: BF82F637

00000000000080f4 <label_104F>:
	s_nop 0                                                    // 0000000080F4: BF800000
	s_nop 0                                                    // 0000000080F8: BF800000
	s_branch label_1A2D                                        // 0000000080FC: BF8209C9

0000000000008100 <label_1052>:
	s_waitcnt lgkmcnt(4)                                       // 000000008100: BF8CC47F
	s_barrier                                                  // 000000008104: BF8A0000
	v_mfma_f32_16x16x16_bf16 v[52:55], a[96:97], a[0:1], 0     // 000000008108: D3E10034 1A020160
	v_mul_f32_e32 v148, s47, v148                              // 000000008110: 0B29282F
	v_mul_f32_e32 v149, s47, v149                              // 000000008114: 0B2B2A2F
	v_mfma_f32_16x16x16_bf16 v[52:55], a[98:99], a[2:3], v[52:55]// 000000008118: D3E10034 1CD20562
	ds_write_b32 v13, v48 offset:8704                          // 000000008120: D81A2200 0000300D
	ds_write_b32 v13, v49 offset:9760                          // 000000008128: D81A2620 0000310D
	v_mfma_f32_16x16x16_bf16 v[52:55], a[100:101], a[4:5], v[52:55]// 000000008130: D3E10034 1CD20964
	v_mul_f32_e32 v150, s47, v150                              // 000000008138: 0B2D2C2F
	v_mul_f32_e32 v151, s47, v151                              // 00000000813C: 0B2F2E2F
	v_mfma_f32_16x16x16_bf16 v[52:55], a[102:103], a[6:7], v[52:55]// 000000008140: D3E10034 1CD20D66
	ds_write_b32 v13, v50 offset:10880                         // 000000008148: D81A2A80 0000320D
	ds_write_b32 v13, v51 offset:11936                         // 000000008150: D81A2EA0 0000330D
	v_mfma_f32_16x16x16_bf16 v[56:59], a[96:97], a[8:9], 0     // 000000008158: D3E10038 1A021160
	v_mul_f32_e32 v152, s47, v152                              // 000000008160: 0B31302F
	v_mul_f32_e32 v153, s47, v153                              // 000000008164: 0B33322F
	v_mfma_f32_16x16x16_bf16 v[56:59], a[98:99], a[10:11], v[56:59]// 000000008168: D3E10038 1CE21562
	ds_write_b64 v22, v[148:149] offset:31232                  // 000000008170: D89A7A00 00009416
	v_mfma_f32_16x16x16_bf16 v[56:59], a[100:101], a[12:13], v[56:59]// 000000008178: D3E10038 1CE21964
	v_mul_f32_e32 v154, s47, v154                              // 000000008180: 0B35342F
	v_mul_f32_e32 v155, s47, v155                              // 000000008184: 0B37362F
	v_mfma_f32_16x16x16_bf16 v[56:59], a[102:103], a[14:15], v[56:59]// 000000008188: D3E10038 1CE21D66
	ds_write_b64 v22, v[150:151] offset:31744                  // 000000008190: D89A7C00 00009616
	v_mfma_f32_16x16x16_bf16 v[60:63], a[96:97], a[16:17], 0   // 000000008198: D3E1003C 1A022160
	buffer_atomic_add_f32 v160, v8, s[32:35], 0 idxen          // 0000000081A0: E1342000 8008A008
	v_mfma_f32_16x16x16_bf16 v[60:63], a[98:99], a[18:19], v[60:63]// 0000000081A8: D3E1003C 1CF22562
	ds_write_b64 v22, v[152:153] offset:32256                  // 0000000081B0: D89A7E00 00009816
	v_mfma_f32_16x16x16_bf16 v[60:63], a[100:101], a[20:21], v[60:63]// 0000000081B8: D3E1003C 1CF22964
	v_mfma_f32_16x16x16_bf16 v[60:63], a[102:103], a[22:23], v[60:63]// 0000000081C0: D3E1003C 1CF22D66
	ds_write_b64 v22, v[154:155] offset:32768                  // 0000000081C8: D89A8000 00009A16
	v_mfma_f32_16x16x16_bf16 v[64:67], a[104:105], a[0:1], 0   // 0000000081D0: D3E10040 1A020168
	buffer_atomic_add_f32 v161, v9, s[32:35], 0 idxen          // 0000000081D8: E1342000 8008A109
	v_mfma_f32_16x16x16_bf16 v[64:67], a[106:107], a[2:3], v[64:67]// 0000000081E0: D3E10040 1D02056A
	ds_read_b128 v[124:127], v14 offset:13056                  // 0000000081E8: D9FE3300 7C00000E
	ds_write_b32 v13, v40                                      // 0000000081F0: D81A0000 0000280D
	v_mfma_f32_16x16x16_bf16 v[64:67], a[108:109], a[4:5], v[64:67]// 0000000081F8: D3E10040 1D02096C
	v_mfma_f32_16x16x16_bf16 v[64:67], a[110:111], a[6:7], v[64:67]// 000000008200: D3E10040 1D020D6E
	v_mfma_f32_16x16x16_bf16 v[68:71], a[104:105], a[8:9], 0   // 000000008208: D3E10044 1A021168
	ds_read_b128 v[128:131], v14 offset:13568                  // 000000008210: D9FE3500 8000000E
	ds_write_b32 v13, v41 offset:1056                          // 000000008218: D81A0420 0000290D
	v_mfma_f32_16x16x16_bf16 v[68:71], a[106:107], a[10:11], v[68:71]// 000000008220: D3E10044 1D12156A
	buffer_atomic_add_f32 v162, v8, s[32:35], 0 idxen offset:128// 000000008228: E1342080 8008A208
	v_mfma_f32_16x16x16_bf16 v[68:71], a[108:109], a[12:13], v[68:71]// 000000008230: D3E10044 1D12196C
	v_mfma_f32_16x16x16_bf16 v[68:71], a[110:111], a[14:15], v[68:71]// 000000008238: D3E10044 1D121D6E
	ds_read_b128 v[132:135], v14 offset:15232                  // 000000008240: D9FE3B80 8400000E
	ds_write_b32 v13, v42 offset:2176                          // 000000008248: D81A0880 00002A0D
	v_mfma_f32_16x16x16_bf16 v[72:75], a[104:105], a[16:17], 0 // 000000008250: D3E10048 1A022168
	v_mfma_f32_16x16x16_bf16 v[72:75], a[106:107], a[18:19], v[72:75]// 000000008258: D3E10048 1D22256A
	buffer_atomic_add_f32 v163, v9, s[32:35], 0 idxen offset:128// 000000008260: E1342080 8008A309
	v_mfma_f32_16x16x16_bf16 v[72:75], a[108:109], a[20:21], v[72:75]// 000000008268: D3E10048 1D22296C
	ds_read_b128 v[136:139], v14 offset:15744                  // 000000008270: D9FE3D80 8800000E
	ds_write_b32 v13, v43 offset:3232                          // 000000008278: D81A0CA0 00002B0D
	v_mfma_f32_16x16x16_bf16 v[72:75], a[110:111], a[22:23], v[72:75]// 000000008280: D3E10048 1D222D6E
	s_cmp_eq_i32 s82, 0                                        // 000000008288: BF008052
	s_cbranch_scc1 label_11AF                                  // 00000000828C: BF8500F0
	s_cmp_lt_i32 s74, 6                                        // 000000008290: BF04864A
	s_cbranch_scc0 label_1136                                  // 000000008294: BF84007E
	s_lshl_b32 s60, s74, 5                                     // 000000008298: 8E3C854A
	s_lshl_b32 s61, 0, 4                                       // 00000000829C: 8E3D8480
	s_add_i32 s60, s60, s61                                    // 0000000082A0: 813C3D3C
	v_sub_i32 v32, v236, s60                                   // 0000000082A4: D29D0020 000079EC
	s_mov_b32 s61, 0                                           // 0000000082AC: BEBD0080
	v_add_i32 v33, v32, s61                                    // 0000000082B0: D29C0021 00007B20
	v_cmp_gt_i32_e64 s[60:61], v33, 0                          // 0000000082B8: D0C4003C 00010121
	v_cmp_gt_i32_e64 s[70:71], v33, 1                          // 0000000082C0: D0C40046 00010321
	v_cndmask_b32_e64 v52, v52, v178, s[60:61]                 // 0000000082C8: D1000034 00F36534
	v_cndmask_b32_e64 v53, v53, v178, s[70:71]                 // 0000000082D0: D1000035 011B6535
	v_cmp_gt_i32_e64 s[60:61], v33, 2                          // 0000000082D8: D0C4003C 00010521
	v_cmp_gt_i32_e64 s[70:71], v33, 3                          // 0000000082E0: D0C40046 00010721
	v_cndmask_b32_e64 v54, v54, v178, s[60:61]                 // 0000000082E8: D1000036 00F36536
	v_cndmask_b32_e64 v55, v55, v178, s[70:71]                 // 0000000082F0: D1000037 011B6537
	s_mov_b32 s61, 64                                          // 0000000082F8: BEBD00C0
	v_add_i32 v33, v32, s61                                    // 0000000082FC: D29C0021 00007B20
	v_cmp_gt_i32_e64 s[60:61], v33, 0                          // 000000008304: D0C4003C 00010121
	v_cmp_gt_i32_e64 s[70:71], v33, 1                          // 00000000830C: D0C40046 00010321
	v_cndmask_b32_e64 v56, v56, v178, s[60:61]                 // 000000008314: D1000038 00F36538
	v_cndmask_b32_e64 v57, v57, v178, s[70:71]                 // 00000000831C: D1000039 011B6539
	v_cmp_gt_i32_e64 s[60:61], v33, 2                          // 000000008324: D0C4003C 00010521
	v_cmp_gt_i32_e64 s[70:71], v33, 3                          // 00000000832C: D0C40046 00010721
	v_cndmask_b32_e64 v58, v58, v178, s[60:61]                 // 000000008334: D100003A 00F3653A
	v_cndmask_b32_e64 v59, v59, v178, s[70:71]                 // 00000000833C: D100003B 011B653B
	s_mov_b32 s61, 0x80                                        // 000000008344: BEBD00FF 00000080
	v_add_i32 v33, v32, s61                                    // 00000000834C: D29C0021 00007B20
	v_cmp_gt_i32_e64 s[60:61], v33, 0                          // 000000008354: D0C4003C 00010121
	v_cmp_gt_i32_e64 s[70:71], v33, 1                          // 00000000835C: D0C40046 00010321
	v_cndmask_b32_e64 v60, v60, v178, s[60:61]                 // 000000008364: D100003C 00F3653C
	v_cndmask_b32_e64 v61, v61, v178, s[70:71]                 // 00000000836C: D100003D 011B653D
	v_cmp_gt_i32_e64 s[60:61], v33, 2                          // 000000008374: D0C4003C 00010521
	v_cmp_gt_i32_e64 s[70:71], v33, 3                          // 00000000837C: D0C40046 00010721
	v_cndmask_b32_e64 v62, v62, v178, s[60:61]                 // 000000008384: D100003E 00F3653E
	v_cndmask_b32_e64 v63, v63, v178, s[70:71]                 // 00000000838C: D100003F 011B653F
	s_lshl_b32 s60, s74, 5                                     // 000000008394: 8E3C854A
	s_lshl_b32 s61, 1, 4                                       // 000000008398: 8E3D8481
	s_add_i32 s60, s60, s61                                    // 00000000839C: 813C3D3C
	v_sub_i32 v32, v236, s60                                   // 0000000083A0: D29D0020 000079EC
	s_mov_b32 s61, 0                                           // 0000000083A8: BEBD0080
	v_add_i32 v33, v32, s61                                    // 0000000083AC: D29C0021 00007B20
	v_cmp_gt_i32_e64 s[60:61], v33, 0                          // 0000000083B4: D0C4003C 00010121
	v_cmp_gt_i32_e64 s[70:71], v33, 1                          // 0000000083BC: D0C40046 00010321
	v_cndmask_b32_e64 v64, v64, v178, s[60:61]                 // 0000000083C4: D1000040 00F36540
	v_cndmask_b32_e64 v65, v65, v178, s[70:71]                 // 0000000083CC: D1000041 011B6541
	v_cmp_gt_i32_e64 s[60:61], v33, 2                          // 0000000083D4: D0C4003C 00010521
	v_cmp_gt_i32_e64 s[70:71], v33, 3                          // 0000000083DC: D0C40046 00010721
	v_cndmask_b32_e64 v66, v66, v178, s[60:61]                 // 0000000083E4: D1000042 00F36542
	v_cndmask_b32_e64 v67, v67, v178, s[70:71]                 // 0000000083EC: D1000043 011B6543
	s_mov_b32 s61, 64                                          // 0000000083F4: BEBD00C0
	v_add_i32 v33, v32, s61                                    // 0000000083F8: D29C0021 00007B20
	v_cmp_gt_i32_e64 s[60:61], v33, 0                          // 000000008400: D0C4003C 00010121
	v_cmp_gt_i32_e64 s[70:71], v33, 1                          // 000000008408: D0C40046 00010321
	v_cndmask_b32_e64 v68, v68, v178, s[60:61]                 // 000000008410: D1000044 00F36544
	v_cndmask_b32_e64 v69, v69, v178, s[70:71]                 // 000000008418: D1000045 011B6545
	v_cmp_gt_i32_e64 s[60:61], v33, 2                          // 000000008420: D0C4003C 00010521
	v_cmp_gt_i32_e64 s[70:71], v33, 3                          // 000000008428: D0C40046 00010721
	v_cndmask_b32_e64 v70, v70, v178, s[60:61]                 // 000000008430: D1000046 00F36546
	v_cndmask_b32_e64 v71, v71, v178, s[70:71]                 // 000000008438: D1000047 011B6547
	s_mov_b32 s61, 0x80                                        // 000000008440: BEBD00FF 00000080
	v_add_i32 v33, v32, s61                                    // 000000008448: D29C0021 00007B20
	v_cmp_gt_i32_e64 s[60:61], v33, 0                          // 000000008450: D0C4003C 00010121
	v_cmp_gt_i32_e64 s[70:71], v33, 1                          // 000000008458: D0C40046 00010321
	v_cndmask_b32_e64 v72, v72, v178, s[60:61]                 // 000000008460: D1000048 00F36548
	v_cndmask_b32_e64 v73, v73, v178, s[70:71]                 // 000000008468: D1000049 011B6549
	v_cmp_gt_i32_e64 s[60:61], v33, 2                          // 000000008470: D0C4003C 00010521
	v_cmp_gt_i32_e64 s[70:71], v33, 3                          // 000000008478: D0C40046 00010721
	v_cndmask_b32_e64 v74, v74, v178, s[60:61]                 // 000000008480: D100004A 00F3654A
	v_cndmask_b32_e64 v75, v75, v178, s[70:71]                 // 000000008488: D100004B 011B654B

0000000000008490 <label_1136>:
	s_cmp_lt_i32 s84, 0xc0                                     // 000000008490: BF04FF54 000000C0
	s_cbranch_scc0 label_11AF                                  // 000000008498: BF84006D
	s_cmp_le_i32 s84, 64                                       // 00000000849C: BF05C054
	s_cbranch_scc1 label_1142                                  // 0000000084A0: BF850007
	s_cmp_le_i32 s84, 0x80                                     // 0000000084A4: BF05FF54 00000080
	s_cbranch_scc1 label_1166                                  // 0000000084AC: BF85001F
	s_cmp_lt_i32 s84, 0xc0                                     // 0000000084B0: BF04FF54 000000C0
	s_cbranch_scc1 label_118A                                  // 0000000084B8: BF850040
	s_branch label_11AF                                        // 0000000084BC: BF820064

00000000000084c0 <label_1142>:
	s_mov_b32 s60, 0                                           // 0000000084C0: BEBC0080
	v_and_b32_e32 v32, 15, v0                                  // 0000000084C4: 2640008F
	v_add_u32_e64 v32, v32, s60                                // 0000000084C8: D1340020 00007920
	v_mul_i32_i24_e64 v33, s46, 16                             // 0000000084D0: D1060021 0001202E
	v_add_u32_e32 v32, v32, v33                                // 0000000084D8: 68404320
	v_cmp_lt_u32_e64 s[60:61], v32, s84                        // 0000000084DC: D0C9003C 0000A920
	s_nop 1                                                    // 0000000084E4: BF800001
	v_cndmask_b32_e64 v52, v178, v52, s[60:61]                 // 0000000084E8: D1000034 00F269B2
	v_cndmask_b32_e64 v64, v178, v64, s[60:61]                 // 0000000084F0: D1000040 00F281B2
	v_cndmask_b32_e64 v53, v178, v53, s[60:61]                 // 0000000084F8: D1000035 00F26BB2
	v_cndmask_b32_e64 v65, v178, v65, s[60:61]                 // 000000008500: D1000041 00F283B2
	v_cndmask_b32_e64 v54, v178, v54, s[60:61]                 // 000000008508: D1000036 00F26DB2
	v_cndmask_b32_e64 v66, v178, v66, s[60:61]                 // 000000008510: D1000042 00F285B2
	v_cndmask_b32_e64 v55, v178, v55, s[60:61]                 // 000000008518: D1000037 00F26FB2
	v_cndmask_b32_e64 v67, v178, v67, s[60:61]                 // 000000008520: D1000043 00F287B2
	s_branch label_1181                                        // 000000008528: BF82001B

000000000000852c <label_1166>:
	s_mov_b32 s60, 64                                          // 00000000852C: BEBC00C0
	v_and_b32_e32 v32, 15, v0                                  // 000000008530: 2640008F
	v_add_u32_e64 v32, v32, s60                                // 000000008534: D1340020 00007920
	v_mul_i32_i24_e64 v33, s46, 16                             // 00000000853C: D1060021 0001202E
	v_add_u32_e32 v32, v32, v33                                // 000000008544: 68404320
	v_cmp_lt_u32_e64 s[60:61], v32, s84                        // 000000008548: D0C9003C 0000A920
	s_nop 1                                                    // 000000008550: BF800001
	v_cndmask_b32_e64 v56, v178, v56, s[60:61]                 // 000000008554: D1000038 00F271B2
	v_cndmask_b32_e64 v68, v178, v68, s[60:61]                 // 00000000855C: D1000044 00F289B2
	v_cndmask_b32_e64 v57, v178, v57, s[60:61]                 // 000000008564: D1000039 00F273B2
	v_cndmask_b32_e64 v69, v178, v69, s[60:61]                 // 00000000856C: D1000045 00F28BB2
	v_cndmask_b32_e64 v58, v178, v58, s[60:61]                 // 000000008574: D100003A 00F275B2
	v_cndmask_b32_e64 v70, v178, v70, s[60:61]                 // 00000000857C: D1000046 00F28DB2
	v_cndmask_b32_e64 v59, v178, v59, s[60:61]                 // 000000008584: D100003B 00F277B2
	v_cndmask_b32_e64 v71, v178, v71, s[60:61]                 // 00000000858C: D1000047 00F28FB2
	s_branch label_11A6                                        // 000000008594: BF820025

0000000000008598 <label_1181>:
	v_mov_b32_e32 v56, v178                                    // 000000008598: 7E7003B2
	v_mov_b32_e32 v68, v178                                    // 00000000859C: 7E8803B2
	v_mov_b32_e32 v57, v178                                    // 0000000085A0: 7E7203B2
	v_mov_b32_e32 v69, v178                                    // 0000000085A4: 7E8A03B2
	v_mov_b32_e32 v58, v178                                    // 0000000085A8: 7E7403B2
	v_mov_b32_e32 v70, v178                                    // 0000000085AC: 7E8C03B2
	v_mov_b32_e32 v59, v178                                    // 0000000085B0: 7E7603B2
	v_mov_b32_e32 v71, v178                                    // 0000000085B4: 7E8E03B2
	s_branch label_11A6                                        // 0000000085B8: BF82001C

00000000000085bc <label_118A>:
	s_mov_b32 s60, 0x80                                        // 0000000085BC: BEBC00FF 00000080
	v_and_b32_e32 v32, 15, v0                                  // 0000000085C4: 2640008F
	v_add_u32_e64 v32, v32, s60                                // 0000000085C8: D1340020 00007920
	v_mul_i32_i24_e64 v33, s46, 16                             // 0000000085D0: D1060021 0001202E
	v_add_u32_e32 v32, v32, v33                                // 0000000085D8: 68404320
	v_cmp_lt_u32_e64 s[60:61], v32, s84                        // 0000000085DC: D0C9003C 0000A920
	s_nop 1                                                    // 0000000085E4: BF800001
	v_cndmask_b32_e64 v60, v178, v60, s[60:61]                 // 0000000085E8: D100003C 00F279B2
	v_cndmask_b32_e64 v72, v178, v72, s[60:61]                 // 0000000085F0: D1000048 00F291B2
	v_cndmask_b32_e64 v61, v178, v61, s[60:61]                 // 0000000085F8: D100003D 00F27BB2
	v_cndmask_b32_e64 v73, v178, v73, s[60:61]                 // 000000008600: D1000049 00F293B2
	v_cndmask_b32_e64 v62, v178, v62, s[60:61]                 // 000000008608: D100003E 00F27DB2
	v_cndmask_b32_e64 v74, v178, v74, s[60:61]                 // 000000008610: D100004A 00F295B2
	v_cndmask_b32_e64 v63, v178, v63, s[60:61]                 // 000000008618: D100003F 00F27FB2
	v_cndmask_b32_e64 v75, v178, v75, s[60:61]                 // 000000008620: D100004B 00F297B2
	s_branch label_11AF                                        // 000000008628: BF820009

000000000000862c <label_11A6>:
	v_mov_b32_e32 v60, v178                                    // 00000000862C: 7E7803B2
	v_mov_b32_e32 v72, v178                                    // 000000008630: 7E9003B2
	v_mov_b32_e32 v61, v178                                    // 000000008634: 7E7A03B2
	v_mov_b32_e32 v73, v178                                    // 000000008638: 7E9203B2
	v_mov_b32_e32 v62, v178                                    // 00000000863C: 7E7C03B2
	v_mov_b32_e32 v74, v178                                    // 000000008640: 7E9403B2
	v_mov_b32_e32 v63, v178                                    // 000000008644: 7E7E03B2
	v_mov_b32_e32 v75, v178                                    // 000000008648: 7E9603B2
	s_branch label_11AF                                        // 00000000864C: BF820000

0000000000008650 <label_11AF>:
	s_addk_i32 s74, 0x1                                        // 000000008650: B74A0001
	s_waitcnt lgkmcnt(8)                                       // 000000008654: BF8CC87F
	s_barrier                                                  // 000000008658: BF8A0000
	v_mfma_f32_16x16x16_bf16 v[76:79], v[108:109], a[72:73], 0 // 00000000865C: D3E1004C 1202916C
	v_fma_f32 v52, v52, s57, -v140                             // 000000008664: D1CB0034 86307334
	v_fma_f32 v53, v53, s57, -v141                             // 00000000866C: D1CB0035 86347335
	v_fma_f32 v54, v54, s57, -v142                             // 000000008674: D1CB0036 86387336
	v_fma_f32 v55, v55, s57, -v143                             // 00000000867C: D1CB0037 863C7337
	v_fma_f32 v56, v56, s57, -v140                             // 000000008684: D1CB0038 86307338
	v_fma_f32 v57, v57, s57, -v141                             // 00000000868C: D1CB0039 86347339
	v_mfma_f32_16x16x16_bf16 v[76:79], v[110:111], a[74:75], v[76:79]// 000000008694: D3E1004C 1532956E
	ds_read_b128 a[96:99], v14 offset:4352                     // 00000000869C: DBFE1100 6000000E
	ds_read_b128 a[100:103], v14 offset:4864                   // 0000000086A4: DBFE1300 6400000E
	v_mfma_f32_16x16x16_bf16 v[76:79], v[112:113], a[76:77], v[76:79]// 0000000086AC: D3E1004C 15329970
	v_fma_f32 v58, v58, s57, -v142                             // 0000000086B4: D1CB003A 8638733A
	v_fma_f32 v59, v59, s57, -v143                             // 0000000086BC: D1CB003B 863C733B
	v_fma_f32 v60, v60, s57, -v140                             // 0000000086C4: D1CB003C 8630733C
	v_fma_f32 v61, v61, s57, -v141                             // 0000000086CC: D1CB003D 8634733D
	v_fma_f32 v62, v62, s57, -v142                             // 0000000086D4: D1CB003E 8638733E
	v_fma_f32 v63, v63, s57, -v143                             // 0000000086DC: D1CB003F 863C733F
	v_mfma_f32_16x16x16_bf16 v[76:79], v[114:115], a[78:79], v[76:79]// 0000000086E4: D3E1004C 15329D72
	v_fma_f32 v64, v64, s57, -v144                             // 0000000086EC: D1CB0040 86407340
	v_fma_f32 v65, v65, s57, -v145                             // 0000000086F4: D1CB0041 86447341
	v_fma_f32 v66, v66, s57, -v146                             // 0000000086FC: D1CB0042 86487342
	v_fma_f32 v67, v67, s57, -v147                             // 000000008704: D1CB0043 864C7343
	v_fma_f32 v68, v68, s57, -v144                             // 00000000870C: D1CB0044 86407344
	v_fma_f32 v69, v69, s57, -v145                             // 000000008714: D1CB0045 86447345
	v_mfma_f32_16x16x16_bf16 v[80:83], v[108:109], a[80:81], 0 // 00000000871C: D3E10050 1202A16C
	v_fma_f32 v70, v70, s57, -v146                             // 000000008724: D1CB0046 86487346
	v_fma_f32 v71, v71, s57, -v147                             // 00000000872C: D1CB0047 864C7347
	v_fma_f32 v72, v72, s57, -v144                             // 000000008734: D1CB0048 86407348
	v_fma_f32 v73, v73, s57, -v145                             // 00000000873C: D1CB0049 86447349
	v_fma_f32 v74, v74, s57, -v146                             // 000000008744: D1CB004A 8648734A
	v_fma_f32 v75, v75, s57, -v147                             // 00000000874C: D1CB004B 864C734B
	v_mfma_f32_16x16x16_bf16 v[80:83], v[110:111], a[82:83], v[80:83]// 000000008754: D3E10050 1542A56E
	ds_read_b128 a[104:107], v14 offset:6528                   // 00000000875C: DBFE1980 6800000E
	ds_read_b128 a[108:111], v14 offset:7040                   // 000000008764: DBFE1B80 6C00000E
	v_mfma_f32_16x16x16_bf16 v[80:83], v[112:113], a[84:85], v[80:83]// 00000000876C: D3E10050 1542A970
	v_exp_f32_e32 v52, v52                                     // 000000008774: 7E684134
	v_exp_f32_e32 v53, v53                                     // 000000008778: 7E6A4135
	v_mfma_f32_16x16x16_bf16 v[80:83], v[114:115], a[86:87], v[80:83]// 00000000877C: D3E10050 1542AD72
	v_exp_f32_e32 v54, v54                                     // 000000008784: 7E6C4136
	v_exp_f32_e32 v55, v55                                     // 000000008788: 7E6E4137
	v_mfma_f32_16x16x16_bf16 v[84:87], v[108:109], a[88:89], 0 // 00000000878C: D3E10054 1202B16C
	v_exp_f32_e32 v56, v56                                     // 000000008794: 7E704138
	v_exp_f32_e32 v57, v57                                     // 000000008798: 7E724139
	v_mfma_f32_16x16x16_bf16 v[84:87], v[110:111], a[90:91], v[84:87]// 00000000879C: D3E10054 1552B56E
	ds_read_b64 v[156:157], v21 offset:31232                   // 0000000087A4: D8EC7A00 9C000015
	ds_read_b64 v[158:159], v21 offset:33280                   // 0000000087AC: D8EC8200 9E000015
	v_mfma_f32_16x16x16_bf16 v[84:87], v[112:113], a[92:93], v[84:87]// 0000000087B4: D3E10054 1552B970
	v_exp_f32_e32 v58, v58                                     // 0000000087BC: 7E74413A
	v_exp_f32_e32 v59, v59                                     // 0000000087C0: 7E76413B
	v_mfma_f32_16x16x16_bf16 v[84:87], v[114:115], a[94:95], v[84:87]// 0000000087C4: D3E10054 1552BD72
	ds_read_b64 v[160:161], v21 offset:35328                   // 0000000087CC: D8EC8A00 A0000015
	ds_read_b64 v[162:163], v21 offset:37376                   // 0000000087D4: D8EC9200 A2000015
	v_mfma_f32_16x16x16_bf16 v[88:91], v[116:117], a[72:73], 0 // 0000000087DC: D3E10058 12029174
	v_exp_f32_e32 v60, v60                                     // 0000000087E4: 7E78413C
	v_exp_f32_e32 v61, v61                                     // 0000000087E8: 7E7A413D
	v_mfma_f32_16x16x16_bf16 v[88:91], v[118:119], a[74:75], v[88:91]// 0000000087EC: D3E10058 15629576
	v_exp_f32_e32 v62, v62                                     // 0000000087F4: 7E7C413E
	v_exp_f32_e32 v63, v63                                     // 0000000087F8: 7E7E413F
	v_mfma_f32_16x16x16_bf16 v[88:91], v[120:121], a[76:77], v[88:91]// 0000000087FC: D3E10058 15629978
	v_exp_f32_e32 v64, v64                                     // 000000008804: 7E804140
	v_exp_f32_e32 v65, v65                                     // 000000008808: 7E824141
	v_mfma_f32_16x16x16_bf16 v[88:91], v[122:123], a[78:79], v[88:91]// 00000000880C: D3E10058 15629D7A
	v_exp_f32_e32 v66, v66                                     // 000000008814: 7E844142
	v_exp_f32_e32 v67, v67                                     // 000000008818: 7E864143
	v_mfma_f32_16x16x16_bf16 v[92:95], v[116:117], a[80:81], 0 // 00000000881C: D3E1005C 1202A174
	v_exp_f32_e32 v68, v68                                     // 000000008824: 7E884144
	v_exp_f32_e32 v69, v69                                     // 000000008828: 7E8A4145
	v_mfma_f32_16x16x16_bf16 v[92:95], v[118:119], a[82:83], v[92:95]// 00000000882C: D3E1005C 1572A576
	v_exp_f32_e32 v70, v70                                     // 000000008834: 7E8C4146
	v_exp_f32_e32 v71, v71                                     // 000000008838: 7E8E4147
	v_mfma_f32_16x16x16_bf16 v[92:95], v[120:121], a[84:85], v[92:95]// 00000000883C: D3E1005C 1572A978
	v_exp_f32_e32 v72, v72                                     // 000000008844: 7E904148
	v_exp_f32_e32 v73, v73                                     // 000000008848: 7E924149
	v_mfma_f32_16x16x16_bf16 v[92:95], v[122:123], a[86:87], v[92:95]// 00000000884C: D3E1005C 1572AD7A
	v_exp_f32_e32 v74, v74                                     // 000000008854: 7E94414A
	v_exp_f32_e32 v75, v75                                     // 000000008858: 7E96414B
	v_mfma_f32_16x16x16_bf16 v[96:99], v[116:117], a[88:89], 0 // 00000000885C: D3E10060 1202B174
	v_cmp_u_f32_e64 s[78:79], v52, v52                         // 000000008864: D048004E 00026934
	v_add3_u32 v228, v52, v231, 1                              // 00000000886C: D1FF00E4 0207CF34
	v_cndmask_b32_e64 v32, v228, v230, s[78:79]                // 000000008874: D1000020 013BCDE4
	v_cmp_u_f32_e64 s[78:79], v53, v53                         // 00000000887C: D048004E 00026B35
	v_add3_u32 v228, v53, v231, 1                              // 000000008884: D1FF00E4 0207CF35
	v_cndmask_b32_e64 v33, v228, v230, s[78:79]                // 00000000888C: D1000021 013BCDE4
	v_perm_b32 v164, v33, v32, s64                             // 000000008894: D1ED00A4 01024121
	v_cmp_u_f32_e64 s[78:79], v54, v54                         // 00000000889C: D048004E 00026D36
	v_add3_u32 v228, v54, v231, 1                              // 0000000088A4: D1FF00E4 0207CF36
	v_cndmask_b32_e64 v32, v228, v230, s[78:79]                // 0000000088AC: D1000020 013BCDE4
	v_cmp_u_f32_e64 s[78:79], v55, v55                         // 0000000088B4: D048004E 00026F37
	v_add3_u32 v228, v55, v231, 1                              // 0000000088BC: D1FF00E4 0207CF37
	v_cndmask_b32_e64 v33, v228, v230, s[78:79]                // 0000000088C4: D1000021 013BCDE4
	v_perm_b32 v165, v33, v32, s64                             // 0000000088CC: D1ED00A5 01024121
	v_cmp_u_f32_e64 s[78:79], v56, v56                         // 0000000088D4: D048004E 00027138
	v_add3_u32 v228, v56, v231, 1                              // 0000000088DC: D1FF00E4 0207CF38
	v_cndmask_b32_e64 v32, v228, v230, s[78:79]                // 0000000088E4: D1000020 013BCDE4
	v_cmp_u_f32_e64 s[78:79], v57, v57                         // 0000000088EC: D048004E 00027339
	v_add3_u32 v228, v57, v231, 1                              // 0000000088F4: D1FF00E4 0207CF39
	v_cndmask_b32_e64 v33, v228, v230, s[78:79]                // 0000000088FC: D1000021 013BCDE4
	v_perm_b32 v166, v33, v32, s64                             // 000000008904: D1ED00A6 01024121
	v_cmp_u_f32_e64 s[78:79], v58, v58                         // 00000000890C: D048004E 0002753A
	v_add3_u32 v228, v58, v231, 1                              // 000000008914: D1FF00E4 0207CF3A
	v_cndmask_b32_e64 v32, v228, v230, s[78:79]                // 00000000891C: D1000020 013BCDE4
	v_cmp_u_f32_e64 s[78:79], v59, v59                         // 000000008924: D048004E 0002773B
	v_add3_u32 v228, v59, v231, 1                              // 00000000892C: D1FF00E4 0207CF3B
	v_cndmask_b32_e64 v33, v228, v230, s[78:79]                // 000000008934: D1000021 013BCDE4
	v_perm_b32 v167, v33, v32, s64                             // 00000000893C: D1ED00A7 01024121
	v_cmp_u_f32_e64 s[78:79], v60, v60                         // 000000008944: D048004E 0002793C
	v_add3_u32 v228, v60, v231, 1                              // 00000000894C: D1FF00E4 0207CF3C
	v_cndmask_b32_e64 v32, v228, v230, s[78:79]                // 000000008954: D1000020 013BCDE4
	v_cmp_u_f32_e64 s[78:79], v61, v61                         // 00000000895C: D048004E 00027B3D
	v_add3_u32 v228, v61, v231, 1                              // 000000008964: D1FF00E4 0207CF3D
	v_cndmask_b32_e64 v33, v228, v230, s[78:79]                // 00000000896C: D1000021 013BCDE4
	v_perm_b32 v168, v33, v32, s64                             // 000000008974: D1ED00A8 01024121
	v_cmp_u_f32_e64 s[78:79], v62, v62                         // 00000000897C: D048004E 00027D3E
	v_add3_u32 v228, v62, v231, 1                              // 000000008984: D1FF00E4 0207CF3E
	v_cndmask_b32_e64 v32, v228, v230, s[78:79]                // 00000000898C: D1000020 013BCDE4
	v_cmp_u_f32_e64 s[78:79], v63, v63                         // 000000008994: D048004E 00027F3F
	v_add3_u32 v228, v63, v231, 1                              // 00000000899C: D1FF00E4 0207CF3F
	v_cndmask_b32_e64 v33, v228, v230, s[78:79]                // 0000000089A4: D1000021 013BCDE4
	v_perm_b32 v169, v33, v32, s64                             // 0000000089AC: D1ED00A9 01024121
	v_mfma_f32_16x16x16_bf16 v[96:99], v[118:119], a[90:91], v[96:99]// 0000000089B4: D3E10060 1582B576
	v_cmp_u_f32_e64 s[78:79], v64, v64                         // 0000000089BC: D048004E 00028140
	v_add3_u32 v228, v64, v231, 1                              // 0000000089C4: D1FF00E4 0207CF40
	v_cndmask_b32_e64 v32, v228, v230, s[78:79]                // 0000000089CC: D1000020 013BCDE4
	v_cmp_u_f32_e64 s[78:79], v65, v65                         // 0000000089D4: D048004E 00028341
	v_add3_u32 v228, v65, v231, 1                              // 0000000089DC: D1FF00E4 0207CF41
	v_cndmask_b32_e64 v33, v228, v230, s[78:79]                // 0000000089E4: D1000021 013BCDE4
	v_perm_b32 v170, v33, v32, s64                             // 0000000089EC: D1ED00AA 01024121
	v_cmp_u_f32_e64 s[78:79], v66, v66                         // 0000000089F4: D048004E 00028542
	v_add3_u32 v228, v66, v231, 1                              // 0000000089FC: D1FF00E4 0207CF42
	v_cndmask_b32_e64 v32, v228, v230, s[78:79]                // 000000008A04: D1000020 013BCDE4
	v_cmp_u_f32_e64 s[78:79], v67, v67                         // 000000008A0C: D048004E 00028743
	v_add3_u32 v228, v67, v231, 1                              // 000000008A14: D1FF00E4 0207CF43
	v_cndmask_b32_e64 v33, v228, v230, s[78:79]                // 000000008A1C: D1000021 013BCDE4
	v_perm_b32 v171, v33, v32, s64                             // 000000008A24: D1ED00AB 01024121
	v_cmp_u_f32_e64 s[78:79], v68, v68                         // 000000008A2C: D048004E 00028944
	v_add3_u32 v228, v68, v231, 1                              // 000000008A34: D1FF00E4 0207CF44
	v_cndmask_b32_e64 v32, v228, v230, s[78:79]                // 000000008A3C: D1000020 013BCDE4
	v_cmp_u_f32_e64 s[78:79], v69, v69                         // 000000008A44: D048004E 00028B45
	v_add3_u32 v228, v69, v231, 1                              // 000000008A4C: D1FF00E4 0207CF45
	v_cndmask_b32_e64 v33, v228, v230, s[78:79]                // 000000008A54: D1000021 013BCDE4
	v_perm_b32 v172, v33, v32, s64                             // 000000008A5C: D1ED00AC 01024121
	v_cmp_u_f32_e64 s[78:79], v70, v70                         // 000000008A64: D048004E 00028D46
	v_add3_u32 v228, v70, v231, 1                              // 000000008A6C: D1FF00E4 0207CF46
	v_cndmask_b32_e64 v32, v228, v230, s[78:79]                // 000000008A74: D1000020 013BCDE4
	v_cmp_u_f32_e64 s[78:79], v71, v71                         // 000000008A7C: D048004E 00028F47
	v_add3_u32 v228, v71, v231, 1                              // 000000008A84: D1FF00E4 0207CF47
	v_cndmask_b32_e64 v33, v228, v230, s[78:79]                // 000000008A8C: D1000021 013BCDE4
	v_perm_b32 v173, v33, v32, s64                             // 000000008A94: D1ED00AD 01024121
	v_cmp_u_f32_e64 s[78:79], v72, v72                         // 000000008A9C: D048004E 00029148
	v_add3_u32 v228, v72, v231, 1                              // 000000008AA4: D1FF00E4 0207CF48
	v_cndmask_b32_e64 v32, v228, v230, s[78:79]                // 000000008AAC: D1000020 013BCDE4
	v_cmp_u_f32_e64 s[78:79], v73, v73                         // 000000008AB4: D048004E 00029349
	v_add3_u32 v228, v73, v231, 1                              // 000000008ABC: D1FF00E4 0207CF49
	v_cndmask_b32_e64 v33, v228, v230, s[78:79]                // 000000008AC4: D1000021 013BCDE4
	v_perm_b32 v174, v33, v32, s64                             // 000000008ACC: D1ED00AE 01024121
	v_cmp_u_f32_e64 s[78:79], v74, v74                         // 000000008AD4: D048004E 0002954A
	v_add3_u32 v228, v74, v231, 1                              // 000000008ADC: D1FF00E4 0207CF4A
	v_cndmask_b32_e64 v32, v228, v230, s[78:79]                // 000000008AE4: D1000020 013BCDE4
	v_cmp_u_f32_e64 s[78:79], v75, v75                         // 000000008AEC: D048004E 0002974B
	v_add3_u32 v228, v75, v231, 1                              // 000000008AF4: D1FF00E4 0207CF4B
	v_cndmask_b32_e64 v33, v228, v230, s[78:79]                // 000000008AFC: D1000021 013BCDE4
	v_perm_b32 v175, v33, v32, s64                             // 000000008B04: D1ED00AF 01024121
	v_mfma_f32_16x16x16_bf16 v[96:99], v[120:121], a[92:93], v[96:99]// 000000008B0C: D3E10060 1582B978
	v_add_u32_e32 v6, s66, v6                                  // 000000008B14: 680C0C42
	v_add_u32_e32 v7, s66, v7                                  // 000000008B18: 680E0E42
	v_add_u32_e32 v8, s66, v8                                  // 000000008B1C: 68101042
	v_add_u32_e32 v9, s66, v9                                  // 000000008B20: 68121242
	v_mfma_f32_16x16x16_bf16 v[96:99], v[122:123], a[94:95], v[96:99]// 000000008B24: D3E10060 1582BD7A
	s_waitcnt lgkmcnt(0)                                       // 000000008B2C: BF8CC07F
	s_barrier                                                  // 000000008B30: BF8A0000
	v_mfma_f32_16x16x16_bf16 v[180:183], v[124:125], v[164:165], v[180:183]// 000000008B34: D3E100B4 06D3497C
	v_subrev_f32_dpp v76, v176, v76 quad_perm:[0,0,0,0] row_mask:0xf bank_mask:0xf// 000000008B3C: 069898FA FF0000B0
	v_subrev_f32_dpp v77, v176, v77 quad_perm:[1,1,1,1] row_mask:0xf bank_mask:0xf// 000000008B44: 069A9AFA FF0055B0
	v_subrev_f32_dpp v78, v176, v78 quad_perm:[2,2,2,2] row_mask:0xf bank_mask:0xf// 000000008B4C: 069C9CFA FF00AAB0
	v_subrev_f32_dpp v79, v176, v79 quad_perm:[3,3,3,3] row_mask:0xf bank_mask:0xf// 000000008B54: 069E9EFA FF00FFB0
	v_subrev_f32_dpp v80, v176, v80 quad_perm:[0,0,0,0] row_mask:0xf bank_mask:0xf// 000000008B5C: 06A0A0FA FF0000B0
	v_subrev_f32_dpp v81, v176, v81 quad_perm:[1,1,1,1] row_mask:0xf bank_mask:0xf// 000000008B64: 06A2A2FA FF0055B0
	v_mfma_f32_16x16x16_bf16 v[184:187], v[126:127], v[164:165], v[184:187]// 000000008B6C: D3E100B8 06E3497E
	v_subrev_f32_dpp v82, v176, v82 quad_perm:[2,2,2,2] row_mask:0xf bank_mask:0xf// 000000008B74: 06A4A4FA FF00AAB0
	v_subrev_f32_dpp v83, v176, v83 quad_perm:[3,3,3,3] row_mask:0xf bank_mask:0xf// 000000008B7C: 06A6A6FA FF00FFB0
	v_subrev_f32_dpp v84, v176, v84 quad_perm:[0,0,0,0] row_mask:0xf bank_mask:0xf// 000000008B84: 06A8A8FA FF0000B0
	v_subrev_f32_dpp v85, v176, v85 quad_perm:[1,1,1,1] row_mask:0xf bank_mask:0xf// 000000008B8C: 06AAAAFA FF0055B0
	v_subrev_f32_dpp v86, v176, v86 quad_perm:[2,2,2,2] row_mask:0xf bank_mask:0xf// 000000008B94: 06ACACFA FF00AAB0
	v_subrev_f32_dpp v87, v176, v87 quad_perm:[3,3,3,3] row_mask:0xf bank_mask:0xf// 000000008B9C: 06AEAEFA FF00FFB0
	v_mfma_f32_16x16x16_bf16 v[188:191], v[128:129], v[164:165], v[188:191]// 000000008BA4: D3E100BC 06F34980
	v_mul_f32_e32 v76, v52, v76                                // 000000008BAC: 0A989934
	v_mul_f32_e32 v77, v53, v77                                // 000000008BB0: 0A9A9B35
	v_mul_f32_e32 v78, v54, v78                                // 000000008BB4: 0A9C9D36
	v_mul_f32_e32 v79, v55, v79                                // 000000008BB8: 0A9E9F37
	v_mul_f32_e32 v80, v56, v80                                // 000000008BBC: 0AA0A138
	v_mul_f32_e32 v81, v57, v81                                // 000000008BC0: 0AA2A339
	v_mfma_f32_16x16x16_bf16 v[192:195], v[130:131], v[164:165], v[192:195]// 000000008BC4: D3E100C0 07034982
	v_mul_f32_e32 v82, v58, v82                                // 000000008BCC: 0AA4A53A
	v_mul_f32_e32 v83, v59, v83                                // 000000008BD0: 0AA6A73B
	v_mul_f32_e32 v84, v60, v84                                // 000000008BD4: 0AA8A93C
	v_mul_f32_e32 v85, v61, v85                                // 000000008BD8: 0AAAAB3D
	v_mul_f32_e32 v86, v62, v86                                // 000000008BDC: 0AACAD3E
	v_mul_f32_e32 v87, v63, v87                                // 000000008BE0: 0AAEAF3F
	v_mfma_f32_16x16x16_bf16 v[196:199], v[124:125], v[166:167], v[196:199]// 000000008BE4: D3E100C4 07134D7C
	v_cmp_u_f32_e64 s[78:79], v76, v76                         // 000000008BEC: D048004E 0002994C
	v_add3_u32 v228, v76, v231, 1                              // 000000008BF4: D1FF00E4 0207CF4C
	v_cndmask_b32_e64 v32, v228, v230, s[78:79]                // 000000008BFC: D1000020 013BCDE4
	v_cmp_u_f32_e64 s[78:79], v77, v77                         // 000000008C04: D048004E 00029B4D
	v_add3_u32 v228, v77, v231, 1                              // 000000008C0C: D1FF00E4 0207CF4D
	v_cndmask_b32_e64 v33, v228, v230, s[78:79]                // 000000008C14: D1000021 013BCDE4
	v_perm_b32 v76, v33, v32, s64                              // 000000008C1C: D1ED004C 01024121
	v_cmp_u_f32_e64 s[78:79], v78, v78                         // 000000008C24: D048004E 00029D4E
	v_add3_u32 v228, v78, v231, 1                              // 000000008C2C: D1FF00E4 0207CF4E
	v_cndmask_b32_e64 v32, v228, v230, s[78:79]                // 000000008C34: D1000020 013BCDE4
	v_cmp_u_f32_e64 s[78:79], v79, v79                         // 000000008C3C: D048004E 00029F4F
	v_add3_u32 v228, v79, v231, 1                              // 000000008C44: D1FF00E4 0207CF4F
	v_cndmask_b32_e64 v33, v228, v230, s[78:79]                // 000000008C4C: D1000021 013BCDE4
	v_perm_b32 v77, v33, v32, s64                              // 000000008C54: D1ED004D 01024121
	v_cmp_u_f32_e64 s[78:79], v80, v80                         // 000000008C5C: D048004E 0002A150
	v_add3_u32 v228, v80, v231, 1                              // 000000008C64: D1FF00E4 0207CF50
	v_cndmask_b32_e64 v32, v228, v230, s[78:79]                // 000000008C6C: D1000020 013BCDE4
	v_cmp_u_f32_e64 s[78:79], v81, v81                         // 000000008C74: D048004E 0002A351
	v_add3_u32 v228, v81, v231, 1                              // 000000008C7C: D1FF00E4 0207CF51
	v_cndmask_b32_e64 v33, v228, v230, s[78:79]                // 000000008C84: D1000021 013BCDE4
	v_perm_b32 v78, v33, v32, s64                              // 000000008C8C: D1ED004E 01024121
	v_cmp_u_f32_e64 s[78:79], v82, v82                         // 000000008C94: D048004E 0002A552
	v_add3_u32 v228, v82, v231, 1                              // 000000008C9C: D1FF00E4 0207CF52
	v_cndmask_b32_e64 v32, v228, v230, s[78:79]                // 000000008CA4: D1000020 013BCDE4
	v_cmp_u_f32_e64 s[78:79], v83, v83                         // 000000008CAC: D048004E 0002A753
	v_add3_u32 v228, v83, v231, 1                              // 000000008CB4: D1FF00E4 0207CF53
	v_cndmask_b32_e64 v33, v228, v230, s[78:79]                // 000000008CBC: D1000021 013BCDE4
	v_perm_b32 v79, v33, v32, s64                              // 000000008CC4: D1ED004F 01024121
	v_cmp_u_f32_e64 s[78:79], v84, v84                         // 000000008CCC: D048004E 0002A954
	v_add3_u32 v228, v84, v231, 1                              // 000000008CD4: D1FF00E4 0207CF54
	v_cndmask_b32_e64 v32, v228, v230, s[78:79]                // 000000008CDC: D1000020 013BCDE4
	v_cmp_u_f32_e64 s[78:79], v85, v85                         // 000000008CE4: D048004E 0002AB55
	v_add3_u32 v228, v85, v231, 1                              // 000000008CEC: D1FF00E4 0207CF55
	v_cndmask_b32_e64 v33, v228, v230, s[78:79]                // 000000008CF4: D1000021 013BCDE4
	v_perm_b32 v80, v33, v32, s64                              // 000000008CFC: D1ED0050 01024121
	v_cmp_u_f32_e64 s[78:79], v86, v86                         // 000000008D04: D048004E 0002AD56
	v_add3_u32 v228, v86, v231, 1                              // 000000008D0C: D1FF00E4 0207CF56
	v_cndmask_b32_e64 v32, v228, v230, s[78:79]                // 000000008D14: D1000020 013BCDE4
	v_cmp_u_f32_e64 s[78:79], v87, v87                         // 000000008D1C: D048004E 0002AF57
	v_add3_u32 v228, v87, v231, 1                              // 000000008D24: D1FF00E4 0207CF57
	v_cndmask_b32_e64 v33, v228, v230, s[78:79]                // 000000008D2C: D1000021 013BCDE4
	v_perm_b32 v81, v33, v32, s64                              // 000000008D34: D1ED0051 01024121
	v_mfma_f32_16x16x16_bf16 v[200:203], v[126:127], v[166:167], v[200:203]// 000000008D3C: D3E100C8 07234D7E
	v_mov_b32_dpp v18, v76 quad_perm:[1,0,3,2] row_mask:0xf bank_mask:0xf// 000000008D44: 7E2402FA FF00B14C
	v_perm_b32 v52, v18, v76, v17                              // 000000008D4C: D1ED0034 04469912
	v_mov_b32_dpp v18, v77 quad_perm:[1,0,3,2] row_mask:0xf bank_mask:0xf// 000000008D54: 7E2402FA FF00B14D
	v_perm_b32 v53, v18, v77, v17                              // 000000008D5C: D1ED0035 04469B12
	v_mov_b32_dpp v18, v78 quad_perm:[1,0,3,2] row_mask:0xf bank_mask:0xf// 000000008D64: 7E2402FA FF00B14E
	v_perm_b32 v54, v18, v78, v17                              // 000000008D6C: D1ED0036 04469D12
	v_mfma_f32_16x16x16_bf16 v[204:207], v[128:129], v[166:167], v[204:207]// 000000008D74: D3E100CC 07334D80
	ds_write_b32 v20, v52 offset:17408                         // 000000008D7C: D81A4400 00003414
	ds_write_b32 v20, v53 offset:17952                         // 000000008D84: D81A4620 00003514
	v_mfma_f32_16x16x16_bf16 v[208:211], v[130:131], v[166:167], v[208:211]// 000000008D8C: D3E100D0 07434D82
	v_mov_b32_dpp v18, v79 quad_perm:[1,0,3,2] row_mask:0xf bank_mask:0xf// 000000008D94: 7E2402FA FF00B14F
	v_perm_b32 v55, v18, v79, v17                              // 000000008D9C: D1ED0037 04469F12
	v_mov_b32_dpp v18, v80 quad_perm:[1,0,3,2] row_mask:0xf bank_mask:0xf// 000000008DA4: 7E2402FA FF00B150
	v_perm_b32 v56, v18, v80, v17                              // 000000008DAC: D1ED0038 0446A112
	v_mov_b32_dpp v18, v81 quad_perm:[1,0,3,2] row_mask:0xf bank_mask:0xf// 000000008DB4: 7E2402FA FF00B151
	v_perm_b32 v57, v18, v81, v17                              // 000000008DBC: D1ED0039 0446A312
	v_mfma_f32_16x16x16_bf16 v[212:215], v[124:125], v[168:169], v[212:215]// 000000008DC4: D3E100D4 0753517C
	ds_write_b32 v20, v54 offset:19712                         // 000000008DCC: D81A4D00 00003614
	ds_write_b32 v20, v55 offset:20256                         // 000000008DD4: D81A4F20 00003714
	v_mfma_f32_16x16x16_bf16 v[216:219], v[126:127], v[168:169], v[216:219]// 000000008DDC: D3E100D8 0763517E
	v_subrev_f32_dpp v88, v177, v88 quad_perm:[0,0,0,0] row_mask:0xf bank_mask:0xf// 000000008DE4: 06B0B0FA FF0000B1
	v_subrev_f32_dpp v89, v177, v89 quad_perm:[1,1,1,1] row_mask:0xf bank_mask:0xf// 000000008DEC: 06B2B2FA FF0055B1
	v_subrev_f32_dpp v90, v177, v90 quad_perm:[2,2,2,2] row_mask:0xf bank_mask:0xf// 000000008DF4: 06B4B4FA FF00AAB1
	v_subrev_f32_dpp v91, v177, v91 quad_perm:[3,3,3,3] row_mask:0xf bank_mask:0xf// 000000008DFC: 06B6B6FA FF00FFB1
	v_subrev_f32_dpp v92, v177, v92 quad_perm:[0,0,0,0] row_mask:0xf bank_mask:0xf// 000000008E04: 06B8B8FA FF0000B1
	v_subrev_f32_dpp v93, v177, v93 quad_perm:[1,1,1,1] row_mask:0xf bank_mask:0xf// 000000008E0C: 06BABAFA FF0055B1
	v_mfma_f32_16x16x16_bf16 v[220:223], v[128:129], v[168:169], v[220:223]// 000000008E14: D3E100DC 07735180
	ds_write_b32 v20, v56 offset:22016                         // 000000008E1C: D81A5600 00003814
	ds_write_b32 v20, v57 offset:22560                         // 000000008E24: D81A5820 00003914
	v_mfma_f32_16x16x16_bf16 v[224:227], v[130:131], v[168:169], v[224:227]// 000000008E2C: D3E100E0 07835182
	v_subrev_f32_dpp v94, v177, v94 quad_perm:[2,2,2,2] row_mask:0xf bank_mask:0xf// 000000008E34: 06BCBCFA FF00AAB1
	v_subrev_f32_dpp v95, v177, v95 quad_perm:[3,3,3,3] row_mask:0xf bank_mask:0xf// 000000008E3C: 06BEBEFA FF00FFB1
	v_subrev_f32_dpp v96, v177, v96 quad_perm:[0,0,0,0] row_mask:0xf bank_mask:0xf// 000000008E44: 06C0C0FA FF0000B1
	v_subrev_f32_dpp v97, v177, v97 quad_perm:[1,1,1,1] row_mask:0xf bank_mask:0xf// 000000008E4C: 06C2C2FA FF0055B1
	v_subrev_f32_dpp v98, v177, v98 quad_perm:[2,2,2,2] row_mask:0xf bank_mask:0xf// 000000008E54: 06C4C4FA FF00AAB1
	v_subrev_f32_dpp v99, v177, v99 quad_perm:[3,3,3,3] row_mask:0xf bank_mask:0xf// 000000008E5C: 06C6C6FA FF00FFB1
	v_mfma_f32_16x16x16_bf16 v[180:183], v[132:133], v[170:171], v[180:183]// 000000008E64: D3E100B4 06D35584
	v_mul_f32_e32 v88, v64, v88                                // 000000008E6C: 0AB0B140
	v_mul_f32_e32 v89, v65, v89                                // 000000008E70: 0AB2B341
	v_mul_f32_e32 v90, v66, v90                                // 000000008E74: 0AB4B542
	v_mul_f32_e32 v91, v67, v91                                // 000000008E78: 0AB6B743
	v_mul_f32_e32 v92, v68, v92                                // 000000008E7C: 0AB8B944
	v_mul_f32_e32 v93, v69, v93                                // 000000008E80: 0ABABB45
	v_mfma_f32_16x16x16_bf16 v[184:187], v[134:135], v[170:171], v[184:187]// 000000008E84: D3E100B8 06E35586
	v_mul_f32_e32 v94, v70, v94                                // 000000008E8C: 0ABCBD46
	v_mul_f32_e32 v95, v71, v95                                // 000000008E90: 0ABEBF47
	v_mul_f32_e32 v96, v72, v96                                // 000000008E94: 0AC0C148
	v_mul_f32_e32 v97, v73, v97                                // 000000008E98: 0AC2C349
	v_mul_f32_e32 v98, v74, v98                                // 000000008E9C: 0AC4C54A
	v_mul_f32_e32 v99, v75, v99                                // 000000008EA0: 0AC6C74B
	v_mfma_f32_16x16x16_bf16 v[188:191], v[136:137], v[170:171], v[188:191]// 000000008EA4: D3E100BC 06F35588
	v_cmp_u_f32_e64 s[78:79], v88, v88                         // 000000008EAC: D048004E 0002B158
	v_add3_u32 v228, v88, v231, 1                              // 000000008EB4: D1FF00E4 0207CF58
	v_cndmask_b32_e64 v32, v228, v230, s[78:79]                // 000000008EBC: D1000020 013BCDE4
	v_cmp_u_f32_e64 s[78:79], v89, v89                         // 000000008EC4: D048004E 0002B359
	v_add3_u32 v228, v89, v231, 1                              // 000000008ECC: D1FF00E4 0207CF59
	v_cndmask_b32_e64 v33, v228, v230, s[78:79]                // 000000008ED4: D1000021 013BCDE4
	v_perm_b32 v82, v33, v32, s64                              // 000000008EDC: D1ED0052 01024121
	v_cmp_u_f32_e64 s[78:79], v90, v90                         // 000000008EE4: D048004E 0002B55A
	v_add3_u32 v228, v90, v231, 1                              // 000000008EEC: D1FF00E4 0207CF5A
	v_cndmask_b32_e64 v32, v228, v230, s[78:79]                // 000000008EF4: D1000020 013BCDE4
	v_cmp_u_f32_e64 s[78:79], v91, v91                         // 000000008EFC: D048004E 0002B75B
	v_add3_u32 v228, v91, v231, 1                              // 000000008F04: D1FF00E4 0207CF5B
	v_cndmask_b32_e64 v33, v228, v230, s[78:79]                // 000000008F0C: D1000021 013BCDE4
	v_perm_b32 v83, v33, v32, s64                              // 000000008F14: D1ED0053 01024121
	v_cmp_u_f32_e64 s[78:79], v92, v92                         // 000000008F1C: D048004E 0002B95C
	v_add3_u32 v228, v92, v231, 1                              // 000000008F24: D1FF00E4 0207CF5C
	v_cndmask_b32_e64 v32, v228, v230, s[78:79]                // 000000008F2C: D1000020 013BCDE4
	v_cmp_u_f32_e64 s[78:79], v93, v93                         // 000000008F34: D048004E 0002BB5D
	v_add3_u32 v228, v93, v231, 1                              // 000000008F3C: D1FF00E4 0207CF5D
	v_cndmask_b32_e64 v33, v228, v230, s[78:79]                // 000000008F44: D1000021 013BCDE4
	v_perm_b32 v84, v33, v32, s64                              // 000000008F4C: D1ED0054 01024121
	v_cmp_u_f32_e64 s[78:79], v94, v94                         // 000000008F54: D048004E 0002BD5E
	v_add3_u32 v228, v94, v231, 1                              // 000000008F5C: D1FF00E4 0207CF5E
	v_cndmask_b32_e64 v32, v228, v230, s[78:79]                // 000000008F64: D1000020 013BCDE4
	v_cmp_u_f32_e64 s[78:79], v95, v95                         // 000000008F6C: D048004E 0002BF5F
	v_add3_u32 v228, v95, v231, 1                              // 000000008F74: D1FF00E4 0207CF5F
	v_cndmask_b32_e64 v33, v228, v230, s[78:79]                // 000000008F7C: D1000021 013BCDE4
	v_perm_b32 v85, v33, v32, s64                              // 000000008F84: D1ED0055 01024121
	v_cmp_u_f32_e64 s[78:79], v96, v96                         // 000000008F8C: D048004E 0002C160
	v_add3_u32 v228, v96, v231, 1                              // 000000008F94: D1FF00E4 0207CF60
	v_cndmask_b32_e64 v32, v228, v230, s[78:79]                // 000000008F9C: D1000020 013BCDE4
	v_cmp_u_f32_e64 s[78:79], v97, v97                         // 000000008FA4: D048004E 0002C361
	v_add3_u32 v228, v97, v231, 1                              // 000000008FAC: D1FF00E4 0207CF61
	v_cndmask_b32_e64 v33, v228, v230, s[78:79]                // 000000008FB4: D1000021 013BCDE4
	v_perm_b32 v86, v33, v32, s64                              // 000000008FBC: D1ED0056 01024121
	v_cmp_u_f32_e64 s[78:79], v98, v98                         // 000000008FC4: D048004E 0002C562
	v_add3_u32 v228, v98, v231, 1                              // 000000008FCC: D1FF00E4 0207CF62
	v_cndmask_b32_e64 v32, v228, v230, s[78:79]                // 000000008FD4: D1000020 013BCDE4
	v_cmp_u_f32_e64 s[78:79], v99, v99                         // 000000008FDC: D048004E 0002C763
	v_add3_u32 v228, v99, v231, 1                              // 000000008FE4: D1FF00E4 0207CF63
	v_cndmask_b32_e64 v33, v228, v230, s[78:79]                // 000000008FEC: D1000021 013BCDE4
	v_perm_b32 v87, v33, v32, s64                              // 000000008FF4: D1ED0057 01024121
	v_mfma_f32_16x16x16_bf16 v[192:195], v[138:139], v[170:171], v[192:195]// 000000008FFC: D3E100C0 0703558A
	v_mov_b32_dpp v18, v82 quad_perm:[1,0,3,2] row_mask:0xf bank_mask:0xf// 000000009004: 7E2402FA FF00B152
	v_perm_b32 v58, v18, v82, v17                              // 00000000900C: D1ED003A 0446A512
	v_mov_b32_dpp v18, v83 quad_perm:[1,0,3,2] row_mask:0xf bank_mask:0xf// 000000009014: 7E2402FA FF00B153
	v_perm_b32 v59, v18, v83, v17                              // 00000000901C: D1ED003B 0446A712
	v_mov_b32_dpp v18, v84 quad_perm:[1,0,3,2] row_mask:0xf bank_mask:0xf// 000000009024: 7E2402FA FF00B154
	v_perm_b32 v60, v18, v84, v17                              // 00000000902C: D1ED003C 0446A912
	v_mfma_f32_16x16x16_bf16 v[196:199], v[132:133], v[172:173], v[196:199]// 000000009034: D3E100C4 07135984
	ds_write_b32 v20, v58 offset:24320                         // 00000000903C: D81A5F00 00003A14
	ds_write_b32 v20, v59 offset:24864                         // 000000009044: D81A6120 00003B14
	v_mfma_f32_16x16x16_bf16 v[200:203], v[134:135], v[172:173], v[200:203]// 00000000904C: D3E100C8 07235986
	v_mov_b32_dpp v18, v85 quad_perm:[1,0,3,2] row_mask:0xf bank_mask:0xf// 000000009054: 7E2402FA FF00B155
	v_perm_b32 v61, v18, v85, v17                              // 00000000905C: D1ED003D 0446AB12
	v_mov_b32_dpp v18, v86 quad_perm:[1,0,3,2] row_mask:0xf bank_mask:0xf// 000000009064: 7E2402FA FF00B156
	v_perm_b32 v62, v18, v86, v17                              // 00000000906C: D1ED003E 0446AD12
	v_mov_b32_dpp v18, v87 quad_perm:[1,0,3,2] row_mask:0xf bank_mask:0xf// 000000009074: 7E2402FA FF00B157
	v_perm_b32 v63, v18, v87, v17                              // 00000000907C: D1ED003F 0446AF12
	v_mfma_f32_16x16x16_bf16 v[204:207], v[136:137], v[172:173], v[204:207]// 000000009084: D3E100CC 07335988
	ds_write_b32 v20, v60 offset:26624                         // 00000000908C: D81A6800 00003C14
	ds_write_b32 v20, v61 offset:27168                         // 000000009094: D81A6A20 00003D14
	ds_write_b32 v20, v62 offset:28928                         // 00000000909C: D81A7100 00003E14
	ds_write_b32 v20, v63 offset:29472                         // 0000000090A4: D81A7320 00003F14
	v_mfma_f32_16x16x16_bf16 v[208:211], v[138:139], v[172:173], v[208:211]// 0000000090AC: D3E100D0 0743598A
	v_mfma_f32_16x16x16_bf16 v[212:215], v[132:133], v[174:175], v[212:215]// 0000000090B4: D3E100D4 07535D84
	ds_write_b32 v15, v100 offset:4352                         // 0000000090BC: D81A1100 0000640F
	ds_write_b32 v15, v101 offset:5408                         // 0000000090C4: D81A1520 0000650F
	v_mfma_f32_16x16x16_bf16 v[216:219], v[134:135], v[174:175], v[216:219]// 0000000090CC: D3E100D8 07635D86
	v_mfma_f32_16x16x16_bf16 v[220:223], v[136:137], v[174:175], v[220:223]// 0000000090D4: D3E100DC 07735D88
	ds_write_b32 v15, v102 offset:6528                         // 0000000090DC: D81A1980 0000660F
	ds_write_b32 v15, v103 offset:7584                         // 0000000090E4: D81A1DA0 0000670F
	v_mfma_f32_16x16x16_bf16 v[224:227], v[138:139], v[174:175], v[224:227]// 0000000090EC: D3E100E0 07835D8A
	s_nop 0                                                    // 0000000090F4: BF800000
	s_nop 0                                                    // 0000000090F8: BF800000
	s_nop 0                                                    // 0000000090FC: BF800000
	s_barrier                                                  // 000000009100: BF8A0000
	v_mfma_f32_16x16x16_bf16 a[112:115], a[96:97], v[76:77], a[112:115]// 000000009104: D3E18070 0DC29960
	ds_read_b32 v140, v23 offset:39936                         // 00000000910C: D86C9C00 8C000017
	ds_read_b32 v144, v23 offset:40000                         // 000000009114: D86C9C40 90000017
	ds_read_b32 v176, v23 offset:40192                         // 00000000911C: D86C9D00 B0000017
	ds_read_b32 v177, v23 offset:40256                         // 000000009124: D86C9D40 B1000017
	v_mfma_f32_16x16x16_bf16 a[116:119], a[98:99], v[76:77], a[116:119]// 00000000912C: D3E18074 0DD29962
	buffer_atomic_add_f32 v156, v6, s[32:35], 0 idxen          // 000000009134: E1342000 80089C06
	v_mfma_f32_16x16x16_bf16 a[120:123], a[100:101], v[76:77], a[120:123]// 00000000913C: D3E18078 0DE29964
	s_waitcnt lgkmcnt(8)                                       // 000000009144: BF8CC87F
	s_barrier                                                  // 000000009148: BF8A0000
	v_mfma_f32_16x16x16_bf16 a[124:127], a[102:103], v[76:77], a[124:127]// 00000000914C: D3E1807C 0DF29966
	v_mfma_f32_16x16x16_bf16 a[128:131], a[96:97], v[78:79], a[128:131]// 000000009154: D3E18080 0E029D60
	ds_read_b128 v[52:55], v19 offset:17408                    // 00000000915C: D9FE4400 34000013
	v_mfma_f32_16x16x16_bf16 a[132:135], a[98:99], v[78:79], a[132:135]// 000000009164: D3E18084 0E129D62
	v_mfma_f32_16x16x16_bf16 a[136:139], a[100:101], v[78:79], a[136:139]// 00000000916C: D3E18088 0E229D64
	ds_read_b128 v[56:59], v19 offset:18560                    // 000000009174: D9FE4880 38000013
	v_mfma_f32_16x16x16_bf16 a[140:143], a[102:103], v[78:79], a[140:143]// 00000000917C: D3E1808C 0E329D66
	buffer_atomic_add_f32 v157, v7, s[32:35], 0 idxen          // 000000009184: E1342000 80089D07
	v_mfma_f32_16x16x16_bf16 a[144:147], a[96:97], v[80:81], a[144:147]// 00000000918C: D3E18090 0E42A160
	ds_read_b128 v[60:63], v19 offset:19712                    // 000000009194: D9FE4D00 3C000013
	v_mfma_f32_16x16x16_bf16 a[148:151], a[98:99], v[80:81], a[148:151]// 00000000919C: D3E18094 0E52A162
	v_mfma_f32_16x16x16_bf16 a[152:155], a[100:101], v[80:81], a[152:155]// 0000000091A4: D3E18098 0E62A164
	ds_read_b128 v[64:67], v19 offset:20864                    // 0000000091AC: D9FE5180 40000013
	v_mfma_f32_16x16x16_bf16 a[156:159], a[102:103], v[80:81], a[156:159]// 0000000091B4: D3E1809C 0E72A166
	v_mfma_f32_16x16x16_bf16 a[112:115], a[104:105], v[82:83], a[112:115]// 0000000091BC: D3E18070 0DC2A568
	ds_read_b128 v[68:71], v19 offset:22016                    // 0000000091C4: D9FE5600 44000013
	v_mfma_f32_16x16x16_bf16 a[116:119], a[106:107], v[82:83], a[116:119]// 0000000091CC: D3E18074 0DD2A56A
	buffer_atomic_add_f32 v158, v6, s[32:35], 0 idxen offset:128// 0000000091D4: E1342080 80089E06
	v_mfma_f32_16x16x16_bf16 a[120:123], a[108:109], v[82:83], a[120:123]// 0000000091DC: D3E18078 0DE2A56C
	ds_read_b128 v[72:75], v19 offset:23168                    // 0000000091E4: D9FE5A80 48000013
	v_mfma_f32_16x16x16_bf16 a[124:127], a[110:111], v[82:83], a[124:127]// 0000000091EC: D3E1807C 0DF2A56E
	v_mfma_f32_16x16x16_bf16 a[128:131], a[104:105], v[84:85], a[128:131]// 0000000091F4: D3E18080 0E02A968
	ds_write_b32 v15, v104 offset:13056                        // 0000000091FC: D81A3300 0000680F
	v_mfma_f32_16x16x16_bf16 a[132:135], a[106:107], v[84:85], a[132:135]// 000000009204: D3E18084 0E12A96A
	v_mfma_f32_16x16x16_bf16 a[136:139], a[108:109], v[84:85], a[136:139]// 00000000920C: D3E18088 0E22A96C
	ds_write_b32 v15, v105 offset:14112                        // 000000009214: D81A3720 0000690F
	v_mfma_f32_16x16x16_bf16 a[140:143], a[110:111], v[84:85], a[140:143]// 00000000921C: D3E1808C 0E32A96E
	buffer_atomic_add_f32 v159, v7, s[32:35], 0 idxen offset:128// 000000009224: E1342080 80089F07
	v_mfma_f32_16x16x16_bf16 a[144:147], a[104:105], v[86:87], a[144:147]// 00000000922C: D3E18090 0E42AD68
	ds_write_b32 v15, v106 offset:15232                        // 000000009234: D81A3B80 00006A0F
	v_mfma_f32_16x16x16_bf16 a[148:151], a[106:107], v[86:87], a[148:151]// 00000000923C: D3E18094 0E52AD6A
	v_mfma_f32_16x16x16_bf16 a[152:155], a[108:109], v[86:87], a[152:155]// 000000009244: D3E18098 0E62AD6C
	ds_write_b32 v15, v107 offset:16288                        // 00000000924C: D81A3FA0 00006B0F
	v_mfma_f32_16x16x16_bf16 a[156:159], a[110:111], v[86:87], a[156:159]// 000000009254: D3E1809C 0E72AD6E
	s_waitcnt vmcnt(8) lgkmcnt(4)                              // 00000000925C: BF8C0478
	s_barrier                                                  // 000000009260: BF8A0000
	v_mfma_f32_16x16x16_bf16 v[148:151], v[52:53], a[24:25], 0 // 000000009264: D3E10094 12023134
	ds_read_b128 a[96:99], v12                                 // 00000000926C: DBFE0000 6000000C
	buffer_load_dword v40, v1, s[8:11], 0 idxen                // 000000009274: E0502000 80022801
	v_mfma_f32_16x16x16_bf16 v[148:151], v[54:55], a[28:29], v[148:151]// 00000000927C: D3E10094 16523936
	v_mul_f32_e32 v140, s48, v140                              // 000000009284: 0B191830
	v_mul_f32_e32 v144, s48, v144                              // 000000009288: 0B212030
	s_nop 0                                                    // 00000000928C: BF800000
	v_mfma_f32_16x16x16_bf16 v[148:151], v[56:57], a[32:33], v[148:151]// 000000009290: D3E10094 16524138
	ds_read_b128 a[100:103], v12 offset:512                    // 000000009298: DBFE0200 6400000C
	buffer_load_dword v41, v2, s[8:11], 0 idxen                // 0000000092A0: E0502000 80022902
	v_mfma_f32_16x16x16_bf16 v[148:151], v[58:59], a[36:37], v[148:151]// 0000000092A8: D3E10094 1652493A
	v_mfma_f32_16x16x16_bf16 v[148:151], v[60:61], a[40:41], v[148:151]// 0000000092B0: D3E10094 1652513C
	ds_read_b128 a[104:107], v12 offset:2176                   // 0000000092B8: DBFE0880 6800000C
	buffer_load_dword v42, v3, s[8:11], 0 idxen                // 0000000092C0: E0502000 80022A03
	v_mfma_f32_16x16x16_bf16 v[148:151], v[62:63], a[44:45], v[148:151]// 0000000092C8: D3E10094 1652593E
	v_perm_b32 v100, v37, v36, s63                             // 0000000092D0: D1ED0064 00FE4925
	v_perm_b32 v101, v37, v36, s64                             // 0000000092D8: D1ED0065 01024925
	v_mfma_f32_16x16x16_bf16 v[148:151], v[64:65], a[48:49], v[148:151]// 0000000092E0: D3E10094 16526140
	ds_read_b128 a[108:111], v12 offset:2688                   // 0000000092E8: DBFE0A80 6C00000C
	buffer_load_dword v43, v4, s[8:11], 0 idxen                // 0000000092F0: E0502000 80022B04
	v_mfma_f32_16x16x16_bf16 v[148:151], v[66:67], a[52:53], v[148:151]// 0000000092F8: D3E10094 16526942
	v_perm_b32 v102, v39, v38, s63                             // 000000009300: D1ED0066 00FE4D27
	v_perm_b32 v103, v39, v38, s64                             // 000000009308: D1ED0067 01024D27
	v_mfma_f32_16x16x16_bf16 v[148:151], v[68:69], a[56:57], v[148:151]// 000000009310: D3E10094 16527144
	ds_read_b128 v[108:111], v12 offset:8704                   // 000000009318: D9FE2200 6C00000C
	buffer_load_dword v48, v232, s[20:23], 0 idxen             // 000000009320: E0502000 800530E8
	v_mfma_f32_16x16x16_bf16 v[148:151], v[70:71], a[60:61], v[148:151]// 000000009328: D3E10094 16527946
	v_perm_b32 v104, v45, v44, s63                             // 000000009330: D1ED0068 00FE592D
	v_perm_b32 v105, v45, v44, s64                             // 000000009338: D1ED0069 0102592D
	v_mfma_f32_16x16x16_bf16 v[148:151], v[72:73], a[64:65], v[148:151]// 000000009340: D3E10094 16528148
	ds_read_b128 v[112:115], v12 offset:9216                   // 000000009348: D9FE2400 7000000C
	buffer_load_dword v49, v233, s[20:23], 0 idxen             // 000000009350: E0502000 800531E9
	v_mfma_f32_16x16x16_bf16 v[148:151], v[74:75], a[68:69], v[148:151]// 000000009358: D3E10094 1652894A
	v_perm_b32 v106, v47, v46, s63                             // 000000009360: D1ED006A 00FE5D2F
	v_perm_b32 v107, v47, v46, s64                             // 000000009368: D1ED006B 01025D2F
	v_mfma_f32_16x16x16_bf16 v[152:155], v[52:53], a[26:27], 0 // 000000009370: D3E10098 12023534
	ds_read_b128 v[116:119], v12 offset:10880                  // 000000009378: D9FE2A80 7400000C
	buffer_load_dword v50, v234, s[20:23], 0 idxen             // 000000009380: E0502000 800532EA
	v_mfma_f32_16x16x16_bf16 v[152:155], v[54:55], a[30:31], v[152:155]// 000000009388: D3E10098 16623D36
	v_mov_b32_dpp v143, v140 quad_perm:[3,3,3,3] row_mask:0xf bank_mask:0xf// 000000009390: 7F1E02FA FF00FF8C
	v_mov_b32_dpp v142, v140 quad_perm:[2,2,2,2] row_mask:0xf bank_mask:0xf// 000000009398: 7F1C02FA FF00AA8C
	v_mov_b32_dpp v141, v140 quad_perm:[1,1,1,1] row_mask:0xf bank_mask:0xf// 0000000093A0: 7F1A02FA FF00558C
	v_mov_b32_dpp v140, v140 quad_perm:[0,0,0,0] row_mask:0xf bank_mask:0xf// 0000000093A8: 7F1802FA FF00008C
	v_mfma_f32_16x16x16_bf16 v[152:155], v[56:57], a[34:35], v[152:155]// 0000000093B0: D3E10098 16624538
	ds_read_b128 v[120:123], v12 offset:11392                  // 0000000093B8: D9FE2C80 7800000C
	buffer_load_dword v51, v235, s[20:23], 0 idxen             // 0000000093C0: E0502000 800533EB
	v_mfma_f32_16x16x16_bf16 v[152:155], v[58:59], a[38:39], v[152:155]// 0000000093C8: D3E10098 16624D3A
	v_mov_b32_dpp v147, v144 quad_perm:[3,3,3,3] row_mask:0xf bank_mask:0xf// 0000000093D0: 7F2602FA FF00FF90
	v_mov_b32_dpp v146, v144 quad_perm:[2,2,2,2] row_mask:0xf bank_mask:0xf// 0000000093D8: 7F2402FA FF00AA90
	v_mov_b32_dpp v145, v144 quad_perm:[1,1,1,1] row_mask:0xf bank_mask:0xf// 0000000093E0: 7F2202FA FF005590
	v_mov_b32_dpp v144, v144 quad_perm:[0,0,0,0] row_mask:0xf bank_mask:0xf// 0000000093E8: 7F2002FA FF000090
	s_add_u32 s60, 0x80, s59                                   // 0000000093F0: 803C3BFF 00000080
	v_mfma_f32_16x16x16_bf16 v[152:155], v[60:61], a[42:43], v[152:155]// 0000000093F8: D3E10098 1662553C
	buffer_load_dword v11, s[24:27], 0 idxen lds               // 000000009400: E0512000 8006000B
	v_mfma_f32_16x16x16_bf16 v[152:155], v[62:63], a[46:47], v[152:155]// 000000009408: D3E10098 16625D3E
	s_cmp_lt_u32 s60, s58                                      // 000000009410: BF0A3A3C
	s_cselect_b32 s68, s68, 0                                  // 000000009414: 85448044
	s_cselect_b32 s100, s100, 0                                // 000000009418: 85648064
	s_cselect_b32 s69, s69, 0                                  // 00000000941C: 85458045
	v_mfma_f32_16x16x16_bf16 v[152:155], v[64:65], a[50:51], v[152:155]// 000000009420: D3E10098 16626540
	v_add_u32_e32 v1, s68, v1                                  // 000000009428: 68020244
	v_add_u32_e32 v2, s68, v2                                  // 00000000942C: 68040444
	v_add_u32_e32 v3, s68, v3                                  // 000000009430: 68060644
	v_add_u32_e32 v4, s68, v4                                  // 000000009434: 68080844
	v_mfma_f32_16x16x16_bf16 v[152:155], v[66:67], a[54:55], v[152:155]// 000000009438: D3E10098 16626D42
	v_add_u32_e32 v232, s100, v232                             // 000000009440: 69D1D064
	v_add_u32_e32 v233, s100, v233                             // 000000009444: 69D3D264
	v_add_u32_e32 v234, s100, v234                             // 000000009448: 69D5D464
	v_add_u32_e32 v235, s100, v235                             // 00000000944C: 69D7D664
	v_mfma_f32_16x16x16_bf16 v[152:155], v[68:69], a[58:59], v[152:155]// 000000009450: D3E10098 16627544
	s_mov_b32 m0, s80                                          // 000000009458: BEFC0050
	v_add_u32_e32 v11, s69, v11                                // 00000000945C: 68161645
	v_mfma_f32_16x16x16_bf16 v[152:155], v[70:71], a[62:63], v[152:155]// 000000009460: D3E10098 16627D46
	s_cmp_ge_u32 s59, s73                                      // 000000009468: BF09493B
	s_cselect_b32 s66, s67, s66                                // 00000000946C: 85424243
	v_mfma_f32_16x16x16_bf16 v[152:155], v[72:73], a[66:67], v[152:155]// 000000009470: D3E10098 16628548
	s_addk_i32 s59, 0x20                                       // 000000009478: B73B0020
	s_nop 0                                                    // 00000000947C: BF800000
	s_cmp_lt_i32 s59, s58                                      // 000000009480: BF043A3B
	v_mfma_f32_16x16x16_bf16 v[152:155], v[74:75], a[70:71], v[152:155]// 000000009484: D3E10098 16628D4A
	s_cbranch_scc0 label_104F                                  // 00000000948C: BF84FB19
	s_waitcnt lgkmcnt(4)                                       // 000000009490: BF8CC47F
	s_barrier                                                  // 000000009494: BF8A0000
	v_mfma_f32_16x16x16_bf16 v[52:55], a[96:97], a[0:1], 0     // 000000009498: D3E10034 1A020160
	v_mul_f32_e32 v148, s47, v148                              // 0000000094A0: 0B29282F
	v_mul_f32_e32 v149, s47, v149                              // 0000000094A4: 0B2B2A2F
	v_mfma_f32_16x16x16_bf16 v[52:55], a[98:99], a[2:3], v[52:55]// 0000000094A8: D3E10034 1CD20562
	ds_write_b32 v13, v44 offset:8704                          // 0000000094B0: D81A2200 00002C0D
	ds_write_b32 v13, v45 offset:9760                          // 0000000094B8: D81A2620 00002D0D
	v_mfma_f32_16x16x16_bf16 v[52:55], a[100:101], a[4:5], v[52:55]// 0000000094C0: D3E10034 1CD20964
	v_mul_f32_e32 v150, s47, v150                              // 0000000094C8: 0B2D2C2F
	v_mul_f32_e32 v151, s47, v151                              // 0000000094CC: 0B2F2E2F
	v_mfma_f32_16x16x16_bf16 v[52:55], a[102:103], a[6:7], v[52:55]// 0000000094D0: D3E10034 1CD20D66
	ds_write_b32 v13, v46 offset:10880                         // 0000000094D8: D81A2A80 00002E0D
	ds_write_b32 v13, v47 offset:11936                         // 0000000094E0: D81A2EA0 00002F0D
	v_mfma_f32_16x16x16_bf16 v[56:59], a[96:97], a[8:9], 0     // 0000000094E8: D3E10038 1A021160
	v_mul_f32_e32 v152, s47, v152                              // 0000000094F0: 0B31302F
	v_mul_f32_e32 v153, s47, v153                              // 0000000094F4: 0B33322F
	v_mfma_f32_16x16x16_bf16 v[56:59], a[98:99], a[10:11], v[56:59]// 0000000094F8: D3E10038 1CE21562
	ds_write_b64 v22, v[148:149] offset:31232                  // 000000009500: D89A7A00 00009416
	v_mfma_f32_16x16x16_bf16 v[56:59], a[100:101], a[12:13], v[56:59]// 000000009508: D3E10038 1CE21964
	v_mul_f32_e32 v154, s47, v154                              // 000000009510: 0B35342F
	v_mul_f32_e32 v155, s47, v155                              // 000000009514: 0B37362F
	v_mfma_f32_16x16x16_bf16 v[56:59], a[102:103], a[14:15], v[56:59]// 000000009518: D3E10038 1CE21D66
	ds_write_b64 v22, v[150:151] offset:31744                  // 000000009520: D89A7C00 00009616
	v_mfma_f32_16x16x16_bf16 v[60:63], a[96:97], a[16:17], 0   // 000000009528: D3E1003C 1A022160
	buffer_atomic_add_f32 v160, v8, s[32:35], 0 idxen          // 000000009530: E1342000 8008A008
	v_mfma_f32_16x16x16_bf16 v[60:63], a[98:99], a[18:19], v[60:63]// 000000009538: D3E1003C 1CF22562
	ds_write_b64 v22, v[152:153] offset:32256                  // 000000009540: D89A7E00 00009816
	v_mfma_f32_16x16x16_bf16 v[60:63], a[100:101], a[20:21], v[60:63]// 000000009548: D3E1003C 1CF22964
	v_mfma_f32_16x16x16_bf16 v[60:63], a[102:103], a[22:23], v[60:63]// 000000009550: D3E1003C 1CF22D66
	ds_write_b64 v22, v[154:155] offset:32768                  // 000000009558: D89A8000 00009A16
	v_mfma_f32_16x16x16_bf16 v[64:67], a[104:105], a[0:1], 0   // 000000009560: D3E10040 1A020168
	buffer_atomic_add_f32 v161, v9, s[32:35], 0 idxen          // 000000009568: E1342000 8008A109
	v_mfma_f32_16x16x16_bf16 v[64:67], a[106:107], a[2:3], v[64:67]// 000000009570: D3E10040 1D02056A
	ds_read_b128 v[124:127], v14 offset:13056                  // 000000009578: D9FE3300 7C00000E
	ds_write_b32 v13, v36                                      // 000000009580: D81A0000 0000240D
	v_mfma_f32_16x16x16_bf16 v[64:67], a[108:109], a[4:5], v[64:67]// 000000009588: D3E10040 1D02096C
	v_mfma_f32_16x16x16_bf16 v[64:67], a[110:111], a[6:7], v[64:67]// 000000009590: D3E10040 1D020D6E
	v_mfma_f32_16x16x16_bf16 v[68:71], a[104:105], a[8:9], 0   // 000000009598: D3E10044 1A021168
	ds_read_b128 v[128:131], v14 offset:13568                  // 0000000095A0: D9FE3500 8000000E
	ds_write_b32 v13, v37 offset:1056                          // 0000000095A8: D81A0420 0000250D
	v_mfma_f32_16x16x16_bf16 v[68:71], a[106:107], a[10:11], v[68:71]// 0000000095B0: D3E10044 1D12156A
	buffer_atomic_add_f32 v162, v8, s[32:35], 0 idxen offset:128// 0000000095B8: E1342080 8008A208
	v_mfma_f32_16x16x16_bf16 v[68:71], a[108:109], a[12:13], v[68:71]// 0000000095C0: D3E10044 1D12196C
	v_mfma_f32_16x16x16_bf16 v[68:71], a[110:111], a[14:15], v[68:71]// 0000000095C8: D3E10044 1D121D6E
	ds_read_b128 v[132:135], v14 offset:15232                  // 0000000095D0: D9FE3B80 8400000E
	ds_write_b32 v13, v38 offset:2176                          // 0000000095D8: D81A0880 0000260D
	v_mfma_f32_16x16x16_bf16 v[72:75], a[104:105], a[16:17], 0 // 0000000095E0: D3E10048 1A022168
	v_mfma_f32_16x16x16_bf16 v[72:75], a[106:107], a[18:19], v[72:75]// 0000000095E8: D3E10048 1D22256A
	buffer_atomic_add_f32 v163, v9, s[32:35], 0 idxen offset:128// 0000000095F0: E1342080 8008A309
	v_mfma_f32_16x16x16_bf16 v[72:75], a[108:109], a[20:21], v[72:75]// 0000000095F8: D3E10048 1D22296C
	ds_read_b128 v[136:139], v14 offset:15744                  // 000000009600: D9FE3D80 8800000E
	ds_write_b32 v13, v39 offset:3232                          // 000000009608: D81A0CA0 0000270D
	v_mfma_f32_16x16x16_bf16 v[72:75], a[110:111], a[22:23], v[72:75]// 000000009610: D3E10048 1D222D6E
	s_cmp_eq_i32 s82, 0                                        // 000000009618: BF008052
	s_cbranch_scc1 label_169C                                  // 00000000961C: BF8500F0
	s_cmp_lt_i32 s74, 6                                        // 000000009620: BF04864A
	s_cbranch_scc0 label_1623                                  // 000000009624: BF84007E
	s_lshl_b32 s60, s74, 5                                     // 000000009628: 8E3C854A
	s_lshl_b32 s61, 0, 4                                       // 00000000962C: 8E3D8480
	s_add_i32 s60, s60, s61                                    // 000000009630: 813C3D3C
	v_sub_i32 v32, v236, s60                                   // 000000009634: D29D0020 000079EC
	s_mov_b32 s61, 0                                           // 00000000963C: BEBD0080
	v_add_i32 v33, v32, s61                                    // 000000009640: D29C0021 00007B20
	v_cmp_gt_i32_e64 s[60:61], v33, 0                          // 000000009648: D0C4003C 00010121
	v_cmp_gt_i32_e64 s[70:71], v33, 1                          // 000000009650: D0C40046 00010321
	v_cndmask_b32_e64 v52, v52, v178, s[60:61]                 // 000000009658: D1000034 00F36534
	v_cndmask_b32_e64 v53, v53, v178, s[70:71]                 // 000000009660: D1000035 011B6535
	v_cmp_gt_i32_e64 s[60:61], v33, 2                          // 000000009668: D0C4003C 00010521
	v_cmp_gt_i32_e64 s[70:71], v33, 3                          // 000000009670: D0C40046 00010721
	v_cndmask_b32_e64 v54, v54, v178, s[60:61]                 // 000000009678: D1000036 00F36536
	v_cndmask_b32_e64 v55, v55, v178, s[70:71]                 // 000000009680: D1000037 011B6537
	s_mov_b32 s61, 64                                          // 000000009688: BEBD00C0
	v_add_i32 v33, v32, s61                                    // 00000000968C: D29C0021 00007B20
	v_cmp_gt_i32_e64 s[60:61], v33, 0                          // 000000009694: D0C4003C 00010121
	v_cmp_gt_i32_e64 s[70:71], v33, 1                          // 00000000969C: D0C40046 00010321
	v_cndmask_b32_e64 v56, v56, v178, s[60:61]                 // 0000000096A4: D1000038 00F36538
	v_cndmask_b32_e64 v57, v57, v178, s[70:71]                 // 0000000096AC: D1000039 011B6539
	v_cmp_gt_i32_e64 s[60:61], v33, 2                          // 0000000096B4: D0C4003C 00010521
	v_cmp_gt_i32_e64 s[70:71], v33, 3                          // 0000000096BC: D0C40046 00010721
	v_cndmask_b32_e64 v58, v58, v178, s[60:61]                 // 0000000096C4: D100003A 00F3653A
	v_cndmask_b32_e64 v59, v59, v178, s[70:71]                 // 0000000096CC: D100003B 011B653B
	s_mov_b32 s61, 0x80                                        // 0000000096D4: BEBD00FF 00000080
	v_add_i32 v33, v32, s61                                    // 0000000096DC: D29C0021 00007B20
	v_cmp_gt_i32_e64 s[60:61], v33, 0                          // 0000000096E4: D0C4003C 00010121
	v_cmp_gt_i32_e64 s[70:71], v33, 1                          // 0000000096EC: D0C40046 00010321
	v_cndmask_b32_e64 v60, v60, v178, s[60:61]                 // 0000000096F4: D100003C 00F3653C
	v_cndmask_b32_e64 v61, v61, v178, s[70:71]                 // 0000000096FC: D100003D 011B653D
	v_cmp_gt_i32_e64 s[60:61], v33, 2                          // 000000009704: D0C4003C 00010521
	v_cmp_gt_i32_e64 s[70:71], v33, 3                          // 00000000970C: D0C40046 00010721
	v_cndmask_b32_e64 v62, v62, v178, s[60:61]                 // 000000009714: D100003E 00F3653E
	v_cndmask_b32_e64 v63, v63, v178, s[70:71]                 // 00000000971C: D100003F 011B653F
	s_lshl_b32 s60, s74, 5                                     // 000000009724: 8E3C854A
	s_lshl_b32 s61, 1, 4                                       // 000000009728: 8E3D8481
	s_add_i32 s60, s60, s61                                    // 00000000972C: 813C3D3C
	v_sub_i32 v32, v236, s60                                   // 000000009730: D29D0020 000079EC
	s_mov_b32 s61, 0                                           // 000000009738: BEBD0080
	v_add_i32 v33, v32, s61                                    // 00000000973C: D29C0021 00007B20
	v_cmp_gt_i32_e64 s[60:61], v33, 0                          // 000000009744: D0C4003C 00010121
	v_cmp_gt_i32_e64 s[70:71], v33, 1                          // 00000000974C: D0C40046 00010321
	v_cndmask_b32_e64 v64, v64, v178, s[60:61]                 // 000000009754: D1000040 00F36540
	v_cndmask_b32_e64 v65, v65, v178, s[70:71]                 // 00000000975C: D1000041 011B6541
	v_cmp_gt_i32_e64 s[60:61], v33, 2                          // 000000009764: D0C4003C 00010521
	v_cmp_gt_i32_e64 s[70:71], v33, 3                          // 00000000976C: D0C40046 00010721
	v_cndmask_b32_e64 v66, v66, v178, s[60:61]                 // 000000009774: D1000042 00F36542
	v_cndmask_b32_e64 v67, v67, v178, s[70:71]                 // 00000000977C: D1000043 011B6543
	s_mov_b32 s61, 64                                          // 000000009784: BEBD00C0
	v_add_i32 v33, v32, s61                                    // 000000009788: D29C0021 00007B20
	v_cmp_gt_i32_e64 s[60:61], v33, 0                          // 000000009790: D0C4003C 00010121
	v_cmp_gt_i32_e64 s[70:71], v33, 1                          // 000000009798: D0C40046 00010321
	v_cndmask_b32_e64 v68, v68, v178, s[60:61]                 // 0000000097A0: D1000044 00F36544
	v_cndmask_b32_e64 v69, v69, v178, s[70:71]                 // 0000000097A8: D1000045 011B6545
	v_cmp_gt_i32_e64 s[60:61], v33, 2                          // 0000000097B0: D0C4003C 00010521
	v_cmp_gt_i32_e64 s[70:71], v33, 3                          // 0000000097B8: D0C40046 00010721
	v_cndmask_b32_e64 v70, v70, v178, s[60:61]                 // 0000000097C0: D1000046 00F36546
	v_cndmask_b32_e64 v71, v71, v178, s[70:71]                 // 0000000097C8: D1000047 011B6547
	s_mov_b32 s61, 0x80                                        // 0000000097D0: BEBD00FF 00000080
	v_add_i32 v33, v32, s61                                    // 0000000097D8: D29C0021 00007B20
	v_cmp_gt_i32_e64 s[60:61], v33, 0                          // 0000000097E0: D0C4003C 00010121
	v_cmp_gt_i32_e64 s[70:71], v33, 1                          // 0000000097E8: D0C40046 00010321
	v_cndmask_b32_e64 v72, v72, v178, s[60:61]                 // 0000000097F0: D1000048 00F36548
	v_cndmask_b32_e64 v73, v73, v178, s[70:71]                 // 0000000097F8: D1000049 011B6549
	v_cmp_gt_i32_e64 s[60:61], v33, 2                          // 000000009800: D0C4003C 00010521
	v_cmp_gt_i32_e64 s[70:71], v33, 3                          // 000000009808: D0C40046 00010721
	v_cndmask_b32_e64 v74, v74, v178, s[60:61]                 // 000000009810: D100004A 00F3654A
	v_cndmask_b32_e64 v75, v75, v178, s[70:71]                 // 000000009818: D100004B 011B654B

0000000000009820 <label_1623>:
	s_cmp_lt_i32 s84, 0xc0                                     // 000000009820: BF04FF54 000000C0
	s_cbranch_scc0 label_169C                                  // 000000009828: BF84006D
	s_cmp_le_i32 s84, 64                                       // 00000000982C: BF05C054
	s_cbranch_scc1 label_162F                                  // 000000009830: BF850007
	s_cmp_le_i32 s84, 0x80                                     // 000000009834: BF05FF54 00000080
	s_cbranch_scc1 label_1653                                  // 00000000983C: BF85001F
	s_cmp_lt_i32 s84, 0xc0                                     // 000000009840: BF04FF54 000000C0
	s_cbranch_scc1 label_1677                                  // 000000009848: BF850040
	s_branch label_169C                                        // 00000000984C: BF820064

0000000000009850 <label_162F>:
	s_mov_b32 s60, 0                                           // 000000009850: BEBC0080
	v_and_b32_e32 v32, 15, v0                                  // 000000009854: 2640008F
	v_add_u32_e64 v32, v32, s60                                // 000000009858: D1340020 00007920
	v_mul_i32_i24_e64 v33, s46, 16                             // 000000009860: D1060021 0001202E
	v_add_u32_e32 v32, v32, v33                                // 000000009868: 68404320
	v_cmp_lt_u32_e64 s[60:61], v32, s84                        // 00000000986C: D0C9003C 0000A920
	s_nop 1                                                    // 000000009874: BF800001
	v_cndmask_b32_e64 v52, v178, v52, s[60:61]                 // 000000009878: D1000034 00F269B2
	v_cndmask_b32_e64 v64, v178, v64, s[60:61]                 // 000000009880: D1000040 00F281B2
	v_cndmask_b32_e64 v53, v178, v53, s[60:61]                 // 000000009888: D1000035 00F26BB2
	v_cndmask_b32_e64 v65, v178, v65, s[60:61]                 // 000000009890: D1000041 00F283B2
	v_cndmask_b32_e64 v54, v178, v54, s[60:61]                 // 000000009898: D1000036 00F26DB2
	v_cndmask_b32_e64 v66, v178, v66, s[60:61]                 // 0000000098A0: D1000042 00F285B2
	v_cndmask_b32_e64 v55, v178, v55, s[60:61]                 // 0000000098A8: D1000037 00F26FB2
	v_cndmask_b32_e64 v67, v178, v67, s[60:61]                 // 0000000098B0: D1000043 00F287B2
	s_branch label_166E                                        // 0000000098B8: BF82001B

00000000000098bc <label_1653>:
	s_mov_b32 s60, 64                                          // 0000000098BC: BEBC00C0
	v_and_b32_e32 v32, 15, v0                                  // 0000000098C0: 2640008F
	v_add_u32_e64 v32, v32, s60                                // 0000000098C4: D1340020 00007920
	v_mul_i32_i24_e64 v33, s46, 16                             // 0000000098CC: D1060021 0001202E
	v_add_u32_e32 v32, v32, v33                                // 0000000098D4: 68404320
	v_cmp_lt_u32_e64 s[60:61], v32, s84                        // 0000000098D8: D0C9003C 0000A920
	s_nop 1                                                    // 0000000098E0: BF800001
	v_cndmask_b32_e64 v56, v178, v56, s[60:61]                 // 0000000098E4: D1000038 00F271B2
	v_cndmask_b32_e64 v68, v178, v68, s[60:61]                 // 0000000098EC: D1000044 00F289B2
	v_cndmask_b32_e64 v57, v178, v57, s[60:61]                 // 0000000098F4: D1000039 00F273B2
	v_cndmask_b32_e64 v69, v178, v69, s[60:61]                 // 0000000098FC: D1000045 00F28BB2
	v_cndmask_b32_e64 v58, v178, v58, s[60:61]                 // 000000009904: D100003A 00F275B2
	v_cndmask_b32_e64 v70, v178, v70, s[60:61]                 // 00000000990C: D1000046 00F28DB2
	v_cndmask_b32_e64 v59, v178, v59, s[60:61]                 // 000000009914: D100003B 00F277B2
	v_cndmask_b32_e64 v71, v178, v71, s[60:61]                 // 00000000991C: D1000047 00F28FB2
	s_branch label_1693                                        // 000000009924: BF820025

0000000000009928 <label_166E>:
	v_mov_b32_e32 v56, v178                                    // 000000009928: 7E7003B2
	v_mov_b32_e32 v68, v178                                    // 00000000992C: 7E8803B2
	v_mov_b32_e32 v57, v178                                    // 000000009930: 7E7203B2
	v_mov_b32_e32 v69, v178                                    // 000000009934: 7E8A03B2
	v_mov_b32_e32 v58, v178                                    // 000000009938: 7E7403B2
	v_mov_b32_e32 v70, v178                                    // 00000000993C: 7E8C03B2
	v_mov_b32_e32 v59, v178                                    // 000000009940: 7E7603B2
	v_mov_b32_e32 v71, v178                                    // 000000009944: 7E8E03B2
	s_branch label_1693                                        // 000000009948: BF82001C

000000000000994c <label_1677>:
	s_mov_b32 s60, 0x80                                        // 00000000994C: BEBC00FF 00000080
	v_and_b32_e32 v32, 15, v0                                  // 000000009954: 2640008F
	v_add_u32_e64 v32, v32, s60                                // 000000009958: D1340020 00007920
	v_mul_i32_i24_e64 v33, s46, 16                             // 000000009960: D1060021 0001202E
	v_add_u32_e32 v32, v32, v33                                // 000000009968: 68404320
	v_cmp_lt_u32_e64 s[60:61], v32, s84                        // 00000000996C: D0C9003C 0000A920
	s_nop 1                                                    // 000000009974: BF800001
	v_cndmask_b32_e64 v60, v178, v60, s[60:61]                 // 000000009978: D100003C 00F279B2
	v_cndmask_b32_e64 v72, v178, v72, s[60:61]                 // 000000009980: D1000048 00F291B2
	v_cndmask_b32_e64 v61, v178, v61, s[60:61]                 // 000000009988: D100003D 00F27BB2
	v_cndmask_b32_e64 v73, v178, v73, s[60:61]                 // 000000009990: D1000049 00F293B2
	v_cndmask_b32_e64 v62, v178, v62, s[60:61]                 // 000000009998: D100003E 00F27DB2
	v_cndmask_b32_e64 v74, v178, v74, s[60:61]                 // 0000000099A0: D100004A 00F295B2
	v_cndmask_b32_e64 v63, v178, v63, s[60:61]                 // 0000000099A8: D100003F 00F27FB2
	v_cndmask_b32_e64 v75, v178, v75, s[60:61]                 // 0000000099B0: D100004B 00F297B2
	s_branch label_169C                                        // 0000000099B8: BF820009

00000000000099bc <label_1693>:
	v_mov_b32_e32 v60, v178                                    // 0000000099BC: 7E7803B2
	v_mov_b32_e32 v72, v178                                    // 0000000099C0: 7E9003B2
	v_mov_b32_e32 v61, v178                                    // 0000000099C4: 7E7A03B2
	v_mov_b32_e32 v73, v178                                    // 0000000099C8: 7E9203B2
	v_mov_b32_e32 v62, v178                                    // 0000000099CC: 7E7C03B2
	v_mov_b32_e32 v74, v178                                    // 0000000099D0: 7E9403B2
	v_mov_b32_e32 v63, v178                                    // 0000000099D4: 7E7E03B2
	v_mov_b32_e32 v75, v178                                    // 0000000099D8: 7E9603B2
	s_branch label_169C                                        // 0000000099DC: BF820000

00000000000099e0 <label_169C>:
	s_addk_i32 s74, 0x1                                        // 0000000099E0: B74A0001
	s_waitcnt lgkmcnt(8)                                       // 0000000099E4: BF8CC87F
	s_barrier                                                  // 0000000099E8: BF8A0000
	v_mfma_f32_16x16x16_bf16 v[76:79], v[108:109], a[72:73], 0 // 0000000099EC: D3E1004C 1202916C
	v_fma_f32 v52, v52, s57, -v140                             // 0000000099F4: D1CB0034 86307334
	v_fma_f32 v53, v53, s57, -v141                             // 0000000099FC: D1CB0035 86347335
	v_fma_f32 v54, v54, s57, -v142                             // 000000009A04: D1CB0036 86387336
	v_fma_f32 v55, v55, s57, -v143                             // 000000009A0C: D1CB0037 863C7337
	v_fma_f32 v56, v56, s57, -v140                             // 000000009A14: D1CB0038 86307338
	v_fma_f32 v57, v57, s57, -v141                             // 000000009A1C: D1CB0039 86347339
	v_mfma_f32_16x16x16_bf16 v[76:79], v[110:111], a[74:75], v[76:79]// 000000009A24: D3E1004C 1532956E
	ds_read_b128 a[96:99], v14 offset:4352                     // 000000009A2C: DBFE1100 6000000E
	ds_read_b128 a[100:103], v14 offset:4864                   // 000000009A34: DBFE1300 6400000E
	v_mfma_f32_16x16x16_bf16 v[76:79], v[112:113], a[76:77], v[76:79]// 000000009A3C: D3E1004C 15329970
	v_fma_f32 v58, v58, s57, -v142                             // 000000009A44: D1CB003A 8638733A
	v_fma_f32 v59, v59, s57, -v143                             // 000000009A4C: D1CB003B 863C733B
	v_fma_f32 v60, v60, s57, -v140                             // 000000009A54: D1CB003C 8630733C
	v_fma_f32 v61, v61, s57, -v141                             // 000000009A5C: D1CB003D 8634733D
	v_fma_f32 v62, v62, s57, -v142                             // 000000009A64: D1CB003E 8638733E
	v_fma_f32 v63, v63, s57, -v143                             // 000000009A6C: D1CB003F 863C733F
	v_mfma_f32_16x16x16_bf16 v[76:79], v[114:115], a[78:79], v[76:79]// 000000009A74: D3E1004C 15329D72
	v_fma_f32 v64, v64, s57, -v144                             // 000000009A7C: D1CB0040 86407340
	v_fma_f32 v65, v65, s57, -v145                             // 000000009A84: D1CB0041 86447341
	v_fma_f32 v66, v66, s57, -v146                             // 000000009A8C: D1CB0042 86487342
	v_fma_f32 v67, v67, s57, -v147                             // 000000009A94: D1CB0043 864C7343
	v_fma_f32 v68, v68, s57, -v144                             // 000000009A9C: D1CB0044 86407344
	v_fma_f32 v69, v69, s57, -v145                             // 000000009AA4: D1CB0045 86447345
	v_mfma_f32_16x16x16_bf16 v[80:83], v[108:109], a[80:81], 0 // 000000009AAC: D3E10050 1202A16C
	v_fma_f32 v70, v70, s57, -v146                             // 000000009AB4: D1CB0046 86487346
	v_fma_f32 v71, v71, s57, -v147                             // 000000009ABC: D1CB0047 864C7347
	v_fma_f32 v72, v72, s57, -v144                             // 000000009AC4: D1CB0048 86407348
	v_fma_f32 v73, v73, s57, -v145                             // 000000009ACC: D1CB0049 86447349
	v_fma_f32 v74, v74, s57, -v146                             // 000000009AD4: D1CB004A 8648734A
	v_fma_f32 v75, v75, s57, -v147                             // 000000009ADC: D1CB004B 864C734B
	v_mfma_f32_16x16x16_bf16 v[80:83], v[110:111], a[82:83], v[80:83]// 000000009AE4: D3E10050 1542A56E
	ds_read_b128 a[104:107], v14 offset:6528                   // 000000009AEC: DBFE1980 6800000E
	ds_read_b128 a[108:111], v14 offset:7040                   // 000000009AF4: DBFE1B80 6C00000E
	v_mfma_f32_16x16x16_bf16 v[80:83], v[112:113], a[84:85], v[80:83]// 000000009AFC: D3E10050 1542A970
	v_exp_f32_e32 v52, v52                                     // 000000009B04: 7E684134
	v_exp_f32_e32 v53, v53                                     // 000000009B08: 7E6A4135
	v_mfma_f32_16x16x16_bf16 v[80:83], v[114:115], a[86:87], v[80:83]// 000000009B0C: D3E10050 1542AD72
	v_exp_f32_e32 v54, v54                                     // 000000009B14: 7E6C4136
	v_exp_f32_e32 v55, v55                                     // 000000009B18: 7E6E4137
	v_mfma_f32_16x16x16_bf16 v[84:87], v[108:109], a[88:89], 0 // 000000009B1C: D3E10054 1202B16C
	v_exp_f32_e32 v56, v56                                     // 000000009B24: 7E704138
	v_exp_f32_e32 v57, v57                                     // 000000009B28: 7E724139
	v_mfma_f32_16x16x16_bf16 v[84:87], v[110:111], a[90:91], v[84:87]// 000000009B2C: D3E10054 1552B56E
	ds_read_b64 v[156:157], v21 offset:31232                   // 000000009B34: D8EC7A00 9C000015
	ds_read_b64 v[158:159], v21 offset:33280                   // 000000009B3C: D8EC8200 9E000015
	v_mfma_f32_16x16x16_bf16 v[84:87], v[112:113], a[92:93], v[84:87]// 000000009B44: D3E10054 1552B970
	v_exp_f32_e32 v58, v58                                     // 000000009B4C: 7E74413A
	v_exp_f32_e32 v59, v59                                     // 000000009B50: 7E76413B
	v_mfma_f32_16x16x16_bf16 v[84:87], v[114:115], a[94:95], v[84:87]// 000000009B54: D3E10054 1552BD72
	ds_read_b64 v[160:161], v21 offset:35328                   // 000000009B5C: D8EC8A00 A0000015
	ds_read_b64 v[162:163], v21 offset:37376                   // 000000009B64: D8EC9200 A2000015
	v_mfma_f32_16x16x16_bf16 v[88:91], v[116:117], a[72:73], 0 // 000000009B6C: D3E10058 12029174
	v_exp_f32_e32 v60, v60                                     // 000000009B74: 7E78413C
	v_exp_f32_e32 v61, v61                                     // 000000009B78: 7E7A413D
	v_mfma_f32_16x16x16_bf16 v[88:91], v[118:119], a[74:75], v[88:91]// 000000009B7C: D3E10058 15629576
	v_exp_f32_e32 v62, v62                                     // 000000009B84: 7E7C413E
	v_exp_f32_e32 v63, v63                                     // 000000009B88: 7E7E413F
	v_mfma_f32_16x16x16_bf16 v[88:91], v[120:121], a[76:77], v[88:91]// 000000009B8C: D3E10058 15629978
	v_exp_f32_e32 v64, v64                                     // 000000009B94: 7E804140
	v_exp_f32_e32 v65, v65                                     // 000000009B98: 7E824141
	v_mfma_f32_16x16x16_bf16 v[88:91], v[122:123], a[78:79], v[88:91]// 000000009B9C: D3E10058 15629D7A
	v_exp_f32_e32 v66, v66                                     // 000000009BA4: 7E844142
	v_exp_f32_e32 v67, v67                                     // 000000009BA8: 7E864143
	v_mfma_f32_16x16x16_bf16 v[92:95], v[116:117], a[80:81], 0 // 000000009BAC: D3E1005C 1202A174
	v_exp_f32_e32 v68, v68                                     // 000000009BB4: 7E884144
	v_exp_f32_e32 v69, v69                                     // 000000009BB8: 7E8A4145
	v_mfma_f32_16x16x16_bf16 v[92:95], v[118:119], a[82:83], v[92:95]// 000000009BBC: D3E1005C 1572A576
	v_exp_f32_e32 v70, v70                                     // 000000009BC4: 7E8C4146
	v_exp_f32_e32 v71, v71                                     // 000000009BC8: 7E8E4147
	v_mfma_f32_16x16x16_bf16 v[92:95], v[120:121], a[84:85], v[92:95]// 000000009BCC: D3E1005C 1572A978
	v_exp_f32_e32 v72, v72                                     // 000000009BD4: 7E904148
	v_exp_f32_e32 v73, v73                                     // 000000009BD8: 7E924149
	v_mfma_f32_16x16x16_bf16 v[92:95], v[122:123], a[86:87], v[92:95]// 000000009BDC: D3E1005C 1572AD7A
	v_exp_f32_e32 v74, v74                                     // 000000009BE4: 7E94414A
	v_exp_f32_e32 v75, v75                                     // 000000009BE8: 7E96414B
	v_mfma_f32_16x16x16_bf16 v[96:99], v[116:117], a[88:89], 0 // 000000009BEC: D3E10060 1202B174
	v_cmp_u_f32_e64 s[78:79], v52, v52                         // 000000009BF4: D048004E 00026934
	v_add3_u32 v228, v52, v231, 1                              // 000000009BFC: D1FF00E4 0207CF34
	v_cndmask_b32_e64 v32, v228, v230, s[78:79]                // 000000009C04: D1000020 013BCDE4
	v_cmp_u_f32_e64 s[78:79], v53, v53                         // 000000009C0C: D048004E 00026B35
	v_add3_u32 v228, v53, v231, 1                              // 000000009C14: D1FF00E4 0207CF35
	v_cndmask_b32_e64 v33, v228, v230, s[78:79]                // 000000009C1C: D1000021 013BCDE4
	v_perm_b32 v164, v33, v32, s64                             // 000000009C24: D1ED00A4 01024121
	v_cmp_u_f32_e64 s[78:79], v54, v54                         // 000000009C2C: D048004E 00026D36
	v_add3_u32 v228, v54, v231, 1                              // 000000009C34: D1FF00E4 0207CF36
	v_cndmask_b32_e64 v32, v228, v230, s[78:79]                // 000000009C3C: D1000020 013BCDE4
	v_cmp_u_f32_e64 s[78:79], v55, v55                         // 000000009C44: D048004E 00026F37
	v_add3_u32 v228, v55, v231, 1                              // 000000009C4C: D1FF00E4 0207CF37
	v_cndmask_b32_e64 v33, v228, v230, s[78:79]                // 000000009C54: D1000021 013BCDE4
	v_perm_b32 v165, v33, v32, s64                             // 000000009C5C: D1ED00A5 01024121
	v_cmp_u_f32_e64 s[78:79], v56, v56                         // 000000009C64: D048004E 00027138
	v_add3_u32 v228, v56, v231, 1                              // 000000009C6C: D1FF00E4 0207CF38
	v_cndmask_b32_e64 v32, v228, v230, s[78:79]                // 000000009C74: D1000020 013BCDE4
	v_cmp_u_f32_e64 s[78:79], v57, v57                         // 000000009C7C: D048004E 00027339
	v_add3_u32 v228, v57, v231, 1                              // 000000009C84: D1FF00E4 0207CF39
	v_cndmask_b32_e64 v33, v228, v230, s[78:79]                // 000000009C8C: D1000021 013BCDE4
	v_perm_b32 v166, v33, v32, s64                             // 000000009C94: D1ED00A6 01024121
	v_cmp_u_f32_e64 s[78:79], v58, v58                         // 000000009C9C: D048004E 0002753A
	v_add3_u32 v228, v58, v231, 1                              // 000000009CA4: D1FF00E4 0207CF3A
	v_cndmask_b32_e64 v32, v228, v230, s[78:79]                // 000000009CAC: D1000020 013BCDE4
	v_cmp_u_f32_e64 s[78:79], v59, v59                         // 000000009CB4: D048004E 0002773B
	v_add3_u32 v228, v59, v231, 1                              // 000000009CBC: D1FF00E4 0207CF3B
	v_cndmask_b32_e64 v33, v228, v230, s[78:79]                // 000000009CC4: D1000021 013BCDE4
	v_perm_b32 v167, v33, v32, s64                             // 000000009CCC: D1ED00A7 01024121
	v_cmp_u_f32_e64 s[78:79], v60, v60                         // 000000009CD4: D048004E 0002793C
	v_add3_u32 v228, v60, v231, 1                              // 000000009CDC: D1FF00E4 0207CF3C
	v_cndmask_b32_e64 v32, v228, v230, s[78:79]                // 000000009CE4: D1000020 013BCDE4
	v_cmp_u_f32_e64 s[78:79], v61, v61                         // 000000009CEC: D048004E 00027B3D
	v_add3_u32 v228, v61, v231, 1                              // 000000009CF4: D1FF00E4 0207CF3D
	v_cndmask_b32_e64 v33, v228, v230, s[78:79]                // 000000009CFC: D1000021 013BCDE4
	v_perm_b32 v168, v33, v32, s64                             // 000000009D04: D1ED00A8 01024121
	v_cmp_u_f32_e64 s[78:79], v62, v62                         // 000000009D0C: D048004E 00027D3E
	v_add3_u32 v228, v62, v231, 1                              // 000000009D14: D1FF00E4 0207CF3E
	v_cndmask_b32_e64 v32, v228, v230, s[78:79]                // 000000009D1C: D1000020 013BCDE4
	v_cmp_u_f32_e64 s[78:79], v63, v63                         // 000000009D24: D048004E 00027F3F
	v_add3_u32 v228, v63, v231, 1                              // 000000009D2C: D1FF00E4 0207CF3F
	v_cndmask_b32_e64 v33, v228, v230, s[78:79]                // 000000009D34: D1000021 013BCDE4
	v_perm_b32 v169, v33, v32, s64                             // 000000009D3C: D1ED00A9 01024121
	v_mfma_f32_16x16x16_bf16 v[96:99], v[118:119], a[90:91], v[96:99]// 000000009D44: D3E10060 1582B576
	v_cmp_u_f32_e64 s[78:79], v64, v64                         // 000000009D4C: D048004E 00028140
	v_add3_u32 v228, v64, v231, 1                              // 000000009D54: D1FF00E4 0207CF40
	v_cndmask_b32_e64 v32, v228, v230, s[78:79]                // 000000009D5C: D1000020 013BCDE4
	v_cmp_u_f32_e64 s[78:79], v65, v65                         // 000000009D64: D048004E 00028341
	v_add3_u32 v228, v65, v231, 1                              // 000000009D6C: D1FF00E4 0207CF41
	v_cndmask_b32_e64 v33, v228, v230, s[78:79]                // 000000009D74: D1000021 013BCDE4
	v_perm_b32 v170, v33, v32, s64                             // 000000009D7C: D1ED00AA 01024121
	v_cmp_u_f32_e64 s[78:79], v66, v66                         // 000000009D84: D048004E 00028542
	v_add3_u32 v228, v66, v231, 1                              // 000000009D8C: D1FF00E4 0207CF42
	v_cndmask_b32_e64 v32, v228, v230, s[78:79]                // 000000009D94: D1000020 013BCDE4
	v_cmp_u_f32_e64 s[78:79], v67, v67                         // 000000009D9C: D048004E 00028743
	v_add3_u32 v228, v67, v231, 1                              // 000000009DA4: D1FF00E4 0207CF43
	v_cndmask_b32_e64 v33, v228, v230, s[78:79]                // 000000009DAC: D1000021 013BCDE4
	v_perm_b32 v171, v33, v32, s64                             // 000000009DB4: D1ED00AB 01024121
	v_cmp_u_f32_e64 s[78:79], v68, v68                         // 000000009DBC: D048004E 00028944
	v_add3_u32 v228, v68, v231, 1                              // 000000009DC4: D1FF00E4 0207CF44
	v_cndmask_b32_e64 v32, v228, v230, s[78:79]                // 000000009DCC: D1000020 013BCDE4
	v_cmp_u_f32_e64 s[78:79], v69, v69                         // 000000009DD4: D048004E 00028B45
	v_add3_u32 v228, v69, v231, 1                              // 000000009DDC: D1FF00E4 0207CF45
	v_cndmask_b32_e64 v33, v228, v230, s[78:79]                // 000000009DE4: D1000021 013BCDE4
	v_perm_b32 v172, v33, v32, s64                             // 000000009DEC: D1ED00AC 01024121
	v_cmp_u_f32_e64 s[78:79], v70, v70                         // 000000009DF4: D048004E 00028D46
	v_add3_u32 v228, v70, v231, 1                              // 000000009DFC: D1FF00E4 0207CF46
	v_cndmask_b32_e64 v32, v228, v230, s[78:79]                // 000000009E04: D1000020 013BCDE4
	v_cmp_u_f32_e64 s[78:79], v71, v71                         // 000000009E0C: D048004E 00028F47
	v_add3_u32 v228, v71, v231, 1                              // 000000009E14: D1FF00E4 0207CF47
	v_cndmask_b32_e64 v33, v228, v230, s[78:79]                // 000000009E1C: D1000021 013BCDE4
	v_perm_b32 v173, v33, v32, s64                             // 000000009E24: D1ED00AD 01024121
	v_cmp_u_f32_e64 s[78:79], v72, v72                         // 000000009E2C: D048004E 00029148
	v_add3_u32 v228, v72, v231, 1                              // 000000009E34: D1FF00E4 0207CF48
	v_cndmask_b32_e64 v32, v228, v230, s[78:79]                // 000000009E3C: D1000020 013BCDE4
	v_cmp_u_f32_e64 s[78:79], v73, v73                         // 000000009E44: D048004E 00029349
	v_add3_u32 v228, v73, v231, 1                              // 000000009E4C: D1FF00E4 0207CF49
	v_cndmask_b32_e64 v33, v228, v230, s[78:79]                // 000000009E54: D1000021 013BCDE4
	v_perm_b32 v174, v33, v32, s64                             // 000000009E5C: D1ED00AE 01024121
	v_cmp_u_f32_e64 s[78:79], v74, v74                         // 000000009E64: D048004E 0002954A
	v_add3_u32 v228, v74, v231, 1                              // 000000009E6C: D1FF00E4 0207CF4A
	v_cndmask_b32_e64 v32, v228, v230, s[78:79]                // 000000009E74: D1000020 013BCDE4
	v_cmp_u_f32_e64 s[78:79], v75, v75                         // 000000009E7C: D048004E 0002974B
	v_add3_u32 v228, v75, v231, 1                              // 000000009E84: D1FF00E4 0207CF4B
	v_cndmask_b32_e64 v33, v228, v230, s[78:79]                // 000000009E8C: D1000021 013BCDE4
	v_perm_b32 v175, v33, v32, s64                             // 000000009E94: D1ED00AF 01024121
	v_mfma_f32_16x16x16_bf16 v[96:99], v[120:121], a[92:93], v[96:99]// 000000009E9C: D3E10060 1582B978
	v_add_u32_e32 v6, s66, v6                                  // 000000009EA4: 680C0C42
	v_add_u32_e32 v7, s66, v7                                  // 000000009EA8: 680E0E42
	v_add_u32_e32 v8, s66, v8                                  // 000000009EAC: 68101042
	v_add_u32_e32 v9, s66, v9                                  // 000000009EB0: 68121242
	v_mfma_f32_16x16x16_bf16 v[96:99], v[122:123], a[94:95], v[96:99]// 000000009EB4: D3E10060 1582BD7A
	s_waitcnt lgkmcnt(0)                                       // 000000009EBC: BF8CC07F
	s_barrier                                                  // 000000009EC0: BF8A0000
	v_mfma_f32_16x16x16_bf16 v[180:183], v[124:125], v[164:165], v[180:183]// 000000009EC4: D3E100B4 06D3497C
	v_subrev_f32_dpp v76, v176, v76 quad_perm:[0,0,0,0] row_mask:0xf bank_mask:0xf// 000000009ECC: 069898FA FF0000B0
	v_subrev_f32_dpp v77, v176, v77 quad_perm:[1,1,1,1] row_mask:0xf bank_mask:0xf// 000000009ED4: 069A9AFA FF0055B0
	v_subrev_f32_dpp v78, v176, v78 quad_perm:[2,2,2,2] row_mask:0xf bank_mask:0xf// 000000009EDC: 069C9CFA FF00AAB0
	v_subrev_f32_dpp v79, v176, v79 quad_perm:[3,3,3,3] row_mask:0xf bank_mask:0xf// 000000009EE4: 069E9EFA FF00FFB0
	v_subrev_f32_dpp v80, v176, v80 quad_perm:[0,0,0,0] row_mask:0xf bank_mask:0xf// 000000009EEC: 06A0A0FA FF0000B0
	v_subrev_f32_dpp v81, v176, v81 quad_perm:[1,1,1,1] row_mask:0xf bank_mask:0xf// 000000009EF4: 06A2A2FA FF0055B0
	v_mfma_f32_16x16x16_bf16 v[184:187], v[126:127], v[164:165], v[184:187]// 000000009EFC: D3E100B8 06E3497E
	v_subrev_f32_dpp v82, v176, v82 quad_perm:[2,2,2,2] row_mask:0xf bank_mask:0xf// 000000009F04: 06A4A4FA FF00AAB0
	v_subrev_f32_dpp v83, v176, v83 quad_perm:[3,3,3,3] row_mask:0xf bank_mask:0xf// 000000009F0C: 06A6A6FA FF00FFB0
	v_subrev_f32_dpp v84, v176, v84 quad_perm:[0,0,0,0] row_mask:0xf bank_mask:0xf// 000000009F14: 06A8A8FA FF0000B0
	v_subrev_f32_dpp v85, v176, v85 quad_perm:[1,1,1,1] row_mask:0xf bank_mask:0xf// 000000009F1C: 06AAAAFA FF0055B0
	v_subrev_f32_dpp v86, v176, v86 quad_perm:[2,2,2,2] row_mask:0xf bank_mask:0xf// 000000009F24: 06ACACFA FF00AAB0
	v_subrev_f32_dpp v87, v176, v87 quad_perm:[3,3,3,3] row_mask:0xf bank_mask:0xf// 000000009F2C: 06AEAEFA FF00FFB0
	v_mfma_f32_16x16x16_bf16 v[188:191], v[128:129], v[164:165], v[188:191]// 000000009F34: D3E100BC 06F34980
	v_mul_f32_e32 v76, v52, v76                                // 000000009F3C: 0A989934
	v_mul_f32_e32 v77, v53, v77                                // 000000009F40: 0A9A9B35
	v_mul_f32_e32 v78, v54, v78                                // 000000009F44: 0A9C9D36
	v_mul_f32_e32 v79, v55, v79                                // 000000009F48: 0A9E9F37
	v_mul_f32_e32 v80, v56, v80                                // 000000009F4C: 0AA0A138
	v_mul_f32_e32 v81, v57, v81                                // 000000009F50: 0AA2A339
	v_mfma_f32_16x16x16_bf16 v[192:195], v[130:131], v[164:165], v[192:195]// 000000009F54: D3E100C0 07034982
	v_mul_f32_e32 v82, v58, v82                                // 000000009F5C: 0AA4A53A
	v_mul_f32_e32 v83, v59, v83                                // 000000009F60: 0AA6A73B
	v_mul_f32_e32 v84, v60, v84                                // 000000009F64: 0AA8A93C
	v_mul_f32_e32 v85, v61, v85                                // 000000009F68: 0AAAAB3D
	v_mul_f32_e32 v86, v62, v86                                // 000000009F6C: 0AACAD3E
	v_mul_f32_e32 v87, v63, v87                                // 000000009F70: 0AAEAF3F
	v_mfma_f32_16x16x16_bf16 v[196:199], v[124:125], v[166:167], v[196:199]// 000000009F74: D3E100C4 07134D7C
	v_cmp_u_f32_e64 s[78:79], v76, v76                         // 000000009F7C: D048004E 0002994C
	v_add3_u32 v228, v76, v231, 1                              // 000000009F84: D1FF00E4 0207CF4C
	v_cndmask_b32_e64 v32, v228, v230, s[78:79]                // 000000009F8C: D1000020 013BCDE4
	v_cmp_u_f32_e64 s[78:79], v77, v77                         // 000000009F94: D048004E 00029B4D
	v_add3_u32 v228, v77, v231, 1                              // 000000009F9C: D1FF00E4 0207CF4D
	v_cndmask_b32_e64 v33, v228, v230, s[78:79]                // 000000009FA4: D1000021 013BCDE4
	v_perm_b32 v76, v33, v32, s64                              // 000000009FAC: D1ED004C 01024121
	v_cmp_u_f32_e64 s[78:79], v78, v78                         // 000000009FB4: D048004E 00029D4E
	v_add3_u32 v228, v78, v231, 1                              // 000000009FBC: D1FF00E4 0207CF4E
	v_cndmask_b32_e64 v32, v228, v230, s[78:79]                // 000000009FC4: D1000020 013BCDE4
	v_cmp_u_f32_e64 s[78:79], v79, v79                         // 000000009FCC: D048004E 00029F4F
	v_add3_u32 v228, v79, v231, 1                              // 000000009FD4: D1FF00E4 0207CF4F
	v_cndmask_b32_e64 v33, v228, v230, s[78:79]                // 000000009FDC: D1000021 013BCDE4
	v_perm_b32 v77, v33, v32, s64                              // 000000009FE4: D1ED004D 01024121
	v_cmp_u_f32_e64 s[78:79], v80, v80                         // 000000009FEC: D048004E 0002A150
	v_add3_u32 v228, v80, v231, 1                              // 000000009FF4: D1FF00E4 0207CF50
	v_cndmask_b32_e64 v32, v228, v230, s[78:79]                // 000000009FFC: D1000020 013BCDE4
	v_cmp_u_f32_e64 s[78:79], v81, v81                         // 00000000A004: D048004E 0002A351
	v_add3_u32 v228, v81, v231, 1                              // 00000000A00C: D1FF00E4 0207CF51
	v_cndmask_b32_e64 v33, v228, v230, s[78:79]                // 00000000A014: D1000021 013BCDE4
	v_perm_b32 v78, v33, v32, s64                              // 00000000A01C: D1ED004E 01024121
	v_cmp_u_f32_e64 s[78:79], v82, v82                         // 00000000A024: D048004E 0002A552
	v_add3_u32 v228, v82, v231, 1                              // 00000000A02C: D1FF00E4 0207CF52
	v_cndmask_b32_e64 v32, v228, v230, s[78:79]                // 00000000A034: D1000020 013BCDE4
	v_cmp_u_f32_e64 s[78:79], v83, v83                         // 00000000A03C: D048004E 0002A753
	v_add3_u32 v228, v83, v231, 1                              // 00000000A044: D1FF00E4 0207CF53
	v_cndmask_b32_e64 v33, v228, v230, s[78:79]                // 00000000A04C: D1000021 013BCDE4
	v_perm_b32 v79, v33, v32, s64                              // 00000000A054: D1ED004F 01024121
	v_cmp_u_f32_e64 s[78:79], v84, v84                         // 00000000A05C: D048004E 0002A954
	v_add3_u32 v228, v84, v231, 1                              // 00000000A064: D1FF00E4 0207CF54
	v_cndmask_b32_e64 v32, v228, v230, s[78:79]                // 00000000A06C: D1000020 013BCDE4
	v_cmp_u_f32_e64 s[78:79], v85, v85                         // 00000000A074: D048004E 0002AB55
	v_add3_u32 v228, v85, v231, 1                              // 00000000A07C: D1FF00E4 0207CF55
	v_cndmask_b32_e64 v33, v228, v230, s[78:79]                // 00000000A084: D1000021 013BCDE4
	v_perm_b32 v80, v33, v32, s64                              // 00000000A08C: D1ED0050 01024121
	v_cmp_u_f32_e64 s[78:79], v86, v86                         // 00000000A094: D048004E 0002AD56
	v_add3_u32 v228, v86, v231, 1                              // 00000000A09C: D1FF00E4 0207CF56
	v_cndmask_b32_e64 v32, v228, v230, s[78:79]                // 00000000A0A4: D1000020 013BCDE4
	v_cmp_u_f32_e64 s[78:79], v87, v87                         // 00000000A0AC: D048004E 0002AF57
	v_add3_u32 v228, v87, v231, 1                              // 00000000A0B4: D1FF00E4 0207CF57
	v_cndmask_b32_e64 v33, v228, v230, s[78:79]                // 00000000A0BC: D1000021 013BCDE4
	v_perm_b32 v81, v33, v32, s64                              // 00000000A0C4: D1ED0051 01024121
	v_mfma_f32_16x16x16_bf16 v[200:203], v[126:127], v[166:167], v[200:203]// 00000000A0CC: D3E100C8 07234D7E
	v_mov_b32_dpp v18, v76 quad_perm:[1,0,3,2] row_mask:0xf bank_mask:0xf// 00000000A0D4: 7E2402FA FF00B14C
	v_perm_b32 v52, v18, v76, v17                              // 00000000A0DC: D1ED0034 04469912
	v_mov_b32_dpp v18, v77 quad_perm:[1,0,3,2] row_mask:0xf bank_mask:0xf// 00000000A0E4: 7E2402FA FF00B14D
	v_perm_b32 v53, v18, v77, v17                              // 00000000A0EC: D1ED0035 04469B12
	v_mov_b32_dpp v18, v78 quad_perm:[1,0,3,2] row_mask:0xf bank_mask:0xf// 00000000A0F4: 7E2402FA FF00B14E
	v_perm_b32 v54, v18, v78, v17                              // 00000000A0FC: D1ED0036 04469D12
	v_mfma_f32_16x16x16_bf16 v[204:207], v[128:129], v[166:167], v[204:207]// 00000000A104: D3E100CC 07334D80
	ds_write_b32 v20, v52 offset:17408                         // 00000000A10C: D81A4400 00003414
	ds_write_b32 v20, v53 offset:17952                         // 00000000A114: D81A4620 00003514
	v_mfma_f32_16x16x16_bf16 v[208:211], v[130:131], v[166:167], v[208:211]// 00000000A11C: D3E100D0 07434D82
	v_mov_b32_dpp v18, v79 quad_perm:[1,0,3,2] row_mask:0xf bank_mask:0xf// 00000000A124: 7E2402FA FF00B14F
	v_perm_b32 v55, v18, v79, v17                              // 00000000A12C: D1ED0037 04469F12
	v_mov_b32_dpp v18, v80 quad_perm:[1,0,3,2] row_mask:0xf bank_mask:0xf// 00000000A134: 7E2402FA FF00B150
	v_perm_b32 v56, v18, v80, v17                              // 00000000A13C: D1ED0038 0446A112
	v_mov_b32_dpp v18, v81 quad_perm:[1,0,3,2] row_mask:0xf bank_mask:0xf// 00000000A144: 7E2402FA FF00B151
	v_perm_b32 v57, v18, v81, v17                              // 00000000A14C: D1ED0039 0446A312
	v_mfma_f32_16x16x16_bf16 v[212:215], v[124:125], v[168:169], v[212:215]// 00000000A154: D3E100D4 0753517C
	ds_write_b32 v20, v54 offset:19712                         // 00000000A15C: D81A4D00 00003614
	ds_write_b32 v20, v55 offset:20256                         // 00000000A164: D81A4F20 00003714
	v_mfma_f32_16x16x16_bf16 v[216:219], v[126:127], v[168:169], v[216:219]// 00000000A16C: D3E100D8 0763517E
	v_subrev_f32_dpp v88, v177, v88 quad_perm:[0,0,0,0] row_mask:0xf bank_mask:0xf// 00000000A174: 06B0B0FA FF0000B1
	v_subrev_f32_dpp v89, v177, v89 quad_perm:[1,1,1,1] row_mask:0xf bank_mask:0xf// 00000000A17C: 06B2B2FA FF0055B1
	v_subrev_f32_dpp v90, v177, v90 quad_perm:[2,2,2,2] row_mask:0xf bank_mask:0xf// 00000000A184: 06B4B4FA FF00AAB1
	v_subrev_f32_dpp v91, v177, v91 quad_perm:[3,3,3,3] row_mask:0xf bank_mask:0xf// 00000000A18C: 06B6B6FA FF00FFB1
	v_subrev_f32_dpp v92, v177, v92 quad_perm:[0,0,0,0] row_mask:0xf bank_mask:0xf// 00000000A194: 06B8B8FA FF0000B1
	v_subrev_f32_dpp v93, v177, v93 quad_perm:[1,1,1,1] row_mask:0xf bank_mask:0xf// 00000000A19C: 06BABAFA FF0055B1
	v_mfma_f32_16x16x16_bf16 v[220:223], v[128:129], v[168:169], v[220:223]// 00000000A1A4: D3E100DC 07735180
	ds_write_b32 v20, v56 offset:22016                         // 00000000A1AC: D81A5600 00003814
	ds_write_b32 v20, v57 offset:22560                         // 00000000A1B4: D81A5820 00003914
	v_mfma_f32_16x16x16_bf16 v[224:227], v[130:131], v[168:169], v[224:227]// 00000000A1BC: D3E100E0 07835182
	v_subrev_f32_dpp v94, v177, v94 quad_perm:[2,2,2,2] row_mask:0xf bank_mask:0xf// 00000000A1C4: 06BCBCFA FF00AAB1
	v_subrev_f32_dpp v95, v177, v95 quad_perm:[3,3,3,3] row_mask:0xf bank_mask:0xf// 00000000A1CC: 06BEBEFA FF00FFB1
	v_subrev_f32_dpp v96, v177, v96 quad_perm:[0,0,0,0] row_mask:0xf bank_mask:0xf// 00000000A1D4: 06C0C0FA FF0000B1
	v_subrev_f32_dpp v97, v177, v97 quad_perm:[1,1,1,1] row_mask:0xf bank_mask:0xf// 00000000A1DC: 06C2C2FA FF0055B1
	v_subrev_f32_dpp v98, v177, v98 quad_perm:[2,2,2,2] row_mask:0xf bank_mask:0xf// 00000000A1E4: 06C4C4FA FF00AAB1
	v_subrev_f32_dpp v99, v177, v99 quad_perm:[3,3,3,3] row_mask:0xf bank_mask:0xf// 00000000A1EC: 06C6C6FA FF00FFB1
	v_mfma_f32_16x16x16_bf16 v[180:183], v[132:133], v[170:171], v[180:183]// 00000000A1F4: D3E100B4 06D35584
	v_mul_f32_e32 v88, v64, v88                                // 00000000A1FC: 0AB0B140
	v_mul_f32_e32 v89, v65, v89                                // 00000000A200: 0AB2B341
	v_mul_f32_e32 v90, v66, v90                                // 00000000A204: 0AB4B542
	v_mul_f32_e32 v91, v67, v91                                // 00000000A208: 0AB6B743
	v_mul_f32_e32 v92, v68, v92                                // 00000000A20C: 0AB8B944
	v_mul_f32_e32 v93, v69, v93                                // 00000000A210: 0ABABB45
	v_mfma_f32_16x16x16_bf16 v[184:187], v[134:135], v[170:171], v[184:187]// 00000000A214: D3E100B8 06E35586
	v_mul_f32_e32 v94, v70, v94                                // 00000000A21C: 0ABCBD46
	v_mul_f32_e32 v95, v71, v95                                // 00000000A220: 0ABEBF47
	v_mul_f32_e32 v96, v72, v96                                // 00000000A224: 0AC0C148
	v_mul_f32_e32 v97, v73, v97                                // 00000000A228: 0AC2C349
	v_mul_f32_e32 v98, v74, v98                                // 00000000A22C: 0AC4C54A
	v_mul_f32_e32 v99, v75, v99                                // 00000000A230: 0AC6C74B
	v_mfma_f32_16x16x16_bf16 v[188:191], v[136:137], v[170:171], v[188:191]// 00000000A234: D3E100BC 06F35588
	v_cmp_u_f32_e64 s[78:79], v88, v88                         // 00000000A23C: D048004E 0002B158
	v_add3_u32 v228, v88, v231, 1                              // 00000000A244: D1FF00E4 0207CF58
	v_cndmask_b32_e64 v32, v228, v230, s[78:79]                // 00000000A24C: D1000020 013BCDE4
	v_cmp_u_f32_e64 s[78:79], v89, v89                         // 00000000A254: D048004E 0002B359
	v_add3_u32 v228, v89, v231, 1                              // 00000000A25C: D1FF00E4 0207CF59
	v_cndmask_b32_e64 v33, v228, v230, s[78:79]                // 00000000A264: D1000021 013BCDE4
	v_perm_b32 v82, v33, v32, s64                              // 00000000A26C: D1ED0052 01024121
	v_cmp_u_f32_e64 s[78:79], v90, v90                         // 00000000A274: D048004E 0002B55A
	v_add3_u32 v228, v90, v231, 1                              // 00000000A27C: D1FF00E4 0207CF5A
	v_cndmask_b32_e64 v32, v228, v230, s[78:79]                // 00000000A284: D1000020 013BCDE4
	v_cmp_u_f32_e64 s[78:79], v91, v91                         // 00000000A28C: D048004E 0002B75B
	v_add3_u32 v228, v91, v231, 1                              // 00000000A294: D1FF00E4 0207CF5B
	v_cndmask_b32_e64 v33, v228, v230, s[78:79]                // 00000000A29C: D1000021 013BCDE4
	v_perm_b32 v83, v33, v32, s64                              // 00000000A2A4: D1ED0053 01024121
	v_cmp_u_f32_e64 s[78:79], v92, v92                         // 00000000A2AC: D048004E 0002B95C
	v_add3_u32 v228, v92, v231, 1                              // 00000000A2B4: D1FF00E4 0207CF5C
	v_cndmask_b32_e64 v32, v228, v230, s[78:79]                // 00000000A2BC: D1000020 013BCDE4
	v_cmp_u_f32_e64 s[78:79], v93, v93                         // 00000000A2C4: D048004E 0002BB5D
	v_add3_u32 v228, v93, v231, 1                              // 00000000A2CC: D1FF00E4 0207CF5D
	v_cndmask_b32_e64 v33, v228, v230, s[78:79]                // 00000000A2D4: D1000021 013BCDE4
	v_perm_b32 v84, v33, v32, s64                              // 00000000A2DC: D1ED0054 01024121
	v_cmp_u_f32_e64 s[78:79], v94, v94                         // 00000000A2E4: D048004E 0002BD5E
	v_add3_u32 v228, v94, v231, 1                              // 00000000A2EC: D1FF00E4 0207CF5E
	v_cndmask_b32_e64 v32, v228, v230, s[78:79]                // 00000000A2F4: D1000020 013BCDE4
	v_cmp_u_f32_e64 s[78:79], v95, v95                         // 00000000A2FC: D048004E 0002BF5F
	v_add3_u32 v228, v95, v231, 1                              // 00000000A304: D1FF00E4 0207CF5F
	v_cndmask_b32_e64 v33, v228, v230, s[78:79]                // 00000000A30C: D1000021 013BCDE4
	v_perm_b32 v85, v33, v32, s64                              // 00000000A314: D1ED0055 01024121
	v_cmp_u_f32_e64 s[78:79], v96, v96                         // 00000000A31C: D048004E 0002C160
	v_add3_u32 v228, v96, v231, 1                              // 00000000A324: D1FF00E4 0207CF60
	v_cndmask_b32_e64 v32, v228, v230, s[78:79]                // 00000000A32C: D1000020 013BCDE4
	v_cmp_u_f32_e64 s[78:79], v97, v97                         // 00000000A334: D048004E 0002C361
	v_add3_u32 v228, v97, v231, 1                              // 00000000A33C: D1FF00E4 0207CF61
	v_cndmask_b32_e64 v33, v228, v230, s[78:79]                // 00000000A344: D1000021 013BCDE4
	v_perm_b32 v86, v33, v32, s64                              // 00000000A34C: D1ED0056 01024121
	v_cmp_u_f32_e64 s[78:79], v98, v98                         // 00000000A354: D048004E 0002C562
	v_add3_u32 v228, v98, v231, 1                              // 00000000A35C: D1FF00E4 0207CF62
	v_cndmask_b32_e64 v32, v228, v230, s[78:79]                // 00000000A364: D1000020 013BCDE4
	v_cmp_u_f32_e64 s[78:79], v99, v99                         // 00000000A36C: D048004E 0002C763
	v_add3_u32 v228, v99, v231, 1                              // 00000000A374: D1FF00E4 0207CF63
	v_cndmask_b32_e64 v33, v228, v230, s[78:79]                // 00000000A37C: D1000021 013BCDE4
	v_perm_b32 v87, v33, v32, s64                              // 00000000A384: D1ED0057 01024121
	v_mfma_f32_16x16x16_bf16 v[192:195], v[138:139], v[170:171], v[192:195]// 00000000A38C: D3E100C0 0703558A
	v_mov_b32_dpp v18, v82 quad_perm:[1,0,3,2] row_mask:0xf bank_mask:0xf// 00000000A394: 7E2402FA FF00B152
	v_perm_b32 v58, v18, v82, v17                              // 00000000A39C: D1ED003A 0446A512
	v_mov_b32_dpp v18, v83 quad_perm:[1,0,3,2] row_mask:0xf bank_mask:0xf// 00000000A3A4: 7E2402FA FF00B153
	v_perm_b32 v59, v18, v83, v17                              // 00000000A3AC: D1ED003B 0446A712
	v_mov_b32_dpp v18, v84 quad_perm:[1,0,3,2] row_mask:0xf bank_mask:0xf// 00000000A3B4: 7E2402FA FF00B154
	v_perm_b32 v60, v18, v84, v17                              // 00000000A3BC: D1ED003C 0446A912
	v_mfma_f32_16x16x16_bf16 v[196:199], v[132:133], v[172:173], v[196:199]// 00000000A3C4: D3E100C4 07135984
	ds_write_b32 v20, v58 offset:24320                         // 00000000A3CC: D81A5F00 00003A14
	ds_write_b32 v20, v59 offset:24864                         // 00000000A3D4: D81A6120 00003B14
	v_mfma_f32_16x16x16_bf16 v[200:203], v[134:135], v[172:173], v[200:203]// 00000000A3DC: D3E100C8 07235986
	v_mov_b32_dpp v18, v85 quad_perm:[1,0,3,2] row_mask:0xf bank_mask:0xf// 00000000A3E4: 7E2402FA FF00B155
	v_perm_b32 v61, v18, v85, v17                              // 00000000A3EC: D1ED003D 0446AB12
	v_mov_b32_dpp v18, v86 quad_perm:[1,0,3,2] row_mask:0xf bank_mask:0xf// 00000000A3F4: 7E2402FA FF00B156
	v_perm_b32 v62, v18, v86, v17                              // 00000000A3FC: D1ED003E 0446AD12
	v_mov_b32_dpp v18, v87 quad_perm:[1,0,3,2] row_mask:0xf bank_mask:0xf// 00000000A404: 7E2402FA FF00B157
	v_perm_b32 v63, v18, v87, v17                              // 00000000A40C: D1ED003F 0446AF12
	v_mfma_f32_16x16x16_bf16 v[204:207], v[136:137], v[172:173], v[204:207]// 00000000A414: D3E100CC 07335988
	ds_write_b32 v20, v60 offset:26624                         // 00000000A41C: D81A6800 00003C14
	ds_write_b32 v20, v61 offset:27168                         // 00000000A424: D81A6A20 00003D14
	ds_write_b32 v20, v62 offset:28928                         // 00000000A42C: D81A7100 00003E14
	ds_write_b32 v20, v63 offset:29472                         // 00000000A434: D81A7320 00003F14
	v_mfma_f32_16x16x16_bf16 v[208:211], v[138:139], v[172:173], v[208:211]// 00000000A43C: D3E100D0 0743598A
	v_mfma_f32_16x16x16_bf16 v[212:215], v[132:133], v[174:175], v[212:215]// 00000000A444: D3E100D4 07535D84
	ds_write_b32 v15, v100 offset:4352                         // 00000000A44C: D81A1100 0000640F
	ds_write_b32 v15, v101 offset:5408                         // 00000000A454: D81A1520 0000650F
	v_mfma_f32_16x16x16_bf16 v[216:219], v[134:135], v[174:175], v[216:219]// 00000000A45C: D3E100D8 07635D86
	v_mfma_f32_16x16x16_bf16 v[220:223], v[136:137], v[174:175], v[220:223]// 00000000A464: D3E100DC 07735D88
	ds_write_b32 v15, v102 offset:6528                         // 00000000A46C: D81A1980 0000660F
	ds_write_b32 v15, v103 offset:7584                         // 00000000A474: D81A1DA0 0000670F
	v_mfma_f32_16x16x16_bf16 v[224:227], v[138:139], v[174:175], v[224:227]// 00000000A47C: D3E100E0 07835D8A
	s_nop 0                                                    // 00000000A484: BF800000
	s_nop 0                                                    // 00000000A488: BF800000
	s_nop 0                                                    // 00000000A48C: BF800000
	s_barrier                                                  // 00000000A490: BF8A0000
	v_mfma_f32_16x16x16_bf16 a[112:115], a[96:97], v[76:77], a[112:115]// 00000000A494: D3E18070 0DC29960
	ds_read_b32 v140, v23 offset:39424                         // 00000000A49C: D86C9A00 8C000017
	ds_read_b32 v144, v23 offset:39488                         // 00000000A4A4: D86C9A40 90000017
	ds_read_b32 v176, v23 offset:39680                         // 00000000A4AC: D86C9B00 B0000017
	ds_read_b32 v177, v23 offset:39744                         // 00000000A4B4: D86C9B40 B1000017
	v_mfma_f32_16x16x16_bf16 a[116:119], a[98:99], v[76:77], a[116:119]// 00000000A4BC: D3E18074 0DD29962
	buffer_atomic_add_f32 v156, v6, s[32:35], 0 idxen          // 00000000A4C4: E1342000 80089C06
	v_mfma_f32_16x16x16_bf16 a[120:123], a[100:101], v[76:77], a[120:123]// 00000000A4CC: D3E18078 0DE29964
	s_waitcnt lgkmcnt(8)                                       // 00000000A4D4: BF8CC87F
	s_barrier                                                  // 00000000A4D8: BF8A0000
	v_mfma_f32_16x16x16_bf16 a[124:127], a[102:103], v[76:77], a[124:127]// 00000000A4DC: D3E1807C 0DF29966
	v_mfma_f32_16x16x16_bf16 a[128:131], a[96:97], v[78:79], a[128:131]// 00000000A4E4: D3E18080 0E029D60
	ds_read_b128 v[52:55], v19 offset:17408                    // 00000000A4EC: D9FE4400 34000013
	v_mfma_f32_16x16x16_bf16 a[132:135], a[98:99], v[78:79], a[132:135]// 00000000A4F4: D3E18084 0E129D62
	v_mfma_f32_16x16x16_bf16 a[136:139], a[100:101], v[78:79], a[136:139]// 00000000A4FC: D3E18088 0E229D64
	ds_read_b128 v[56:59], v19 offset:18560                    // 00000000A504: D9FE4880 38000013
	v_mfma_f32_16x16x16_bf16 a[140:143], a[102:103], v[78:79], a[140:143]// 00000000A50C: D3E1808C 0E329D66
	buffer_atomic_add_f32 v157, v7, s[32:35], 0 idxen          // 00000000A514: E1342000 80089D07
	v_mfma_f32_16x16x16_bf16 a[144:147], a[96:97], v[80:81], a[144:147]// 00000000A51C: D3E18090 0E42A160
	ds_read_b128 v[60:63], v19 offset:19712                    // 00000000A524: D9FE4D00 3C000013
	v_mfma_f32_16x16x16_bf16 a[148:151], a[98:99], v[80:81], a[148:151]// 00000000A52C: D3E18094 0E52A162
	v_mfma_f32_16x16x16_bf16 a[152:155], a[100:101], v[80:81], a[152:155]// 00000000A534: D3E18098 0E62A164
	ds_read_b128 v[64:67], v19 offset:20864                    // 00000000A53C: D9FE5180 40000013
	v_mfma_f32_16x16x16_bf16 a[156:159], a[102:103], v[80:81], a[156:159]// 00000000A544: D3E1809C 0E72A166
	v_mfma_f32_16x16x16_bf16 a[112:115], a[104:105], v[82:83], a[112:115]// 00000000A54C: D3E18070 0DC2A568
	ds_read_b128 v[68:71], v19 offset:22016                    // 00000000A554: D9FE5600 44000013
	v_mfma_f32_16x16x16_bf16 a[116:119], a[106:107], v[82:83], a[116:119]// 00000000A55C: D3E18074 0DD2A56A
	buffer_atomic_add_f32 v158, v6, s[32:35], 0 idxen offset:128// 00000000A564: E1342080 80089E06
	v_mfma_f32_16x16x16_bf16 a[120:123], a[108:109], v[82:83], a[120:123]// 00000000A56C: D3E18078 0DE2A56C
	ds_read_b128 v[72:75], v19 offset:23168                    // 00000000A574: D9FE5A80 48000013
	v_mfma_f32_16x16x16_bf16 a[124:127], a[110:111], v[82:83], a[124:127]// 00000000A57C: D3E1807C 0DF2A56E
	v_mfma_f32_16x16x16_bf16 a[128:131], a[104:105], v[84:85], a[128:131]// 00000000A584: D3E18080 0E02A968
	ds_write_b32 v15, v104 offset:13056                        // 00000000A58C: D81A3300 0000680F
	v_mfma_f32_16x16x16_bf16 a[132:135], a[106:107], v[84:85], a[132:135]// 00000000A594: D3E18084 0E12A96A
	v_mfma_f32_16x16x16_bf16 a[136:139], a[108:109], v[84:85], a[136:139]// 00000000A59C: D3E18088 0E22A96C
	ds_write_b32 v15, v105 offset:14112                        // 00000000A5A4: D81A3720 0000690F
	v_mfma_f32_16x16x16_bf16 a[140:143], a[110:111], v[84:85], a[140:143]// 00000000A5AC: D3E1808C 0E32A96E
	buffer_atomic_add_f32 v159, v7, s[32:35], 0 idxen offset:128// 00000000A5B4: E1342080 80089F07
	v_mfma_f32_16x16x16_bf16 a[144:147], a[104:105], v[86:87], a[144:147]// 00000000A5BC: D3E18090 0E42AD68
	ds_write_b32 v15, v106 offset:15232                        // 00000000A5C4: D81A3B80 00006A0F
	v_mfma_f32_16x16x16_bf16 a[148:151], a[106:107], v[86:87], a[148:151]// 00000000A5CC: D3E18094 0E52AD6A
	v_mfma_f32_16x16x16_bf16 a[152:155], a[108:109], v[86:87], a[152:155]// 00000000A5D4: D3E18098 0E62AD6C
	ds_write_b32 v15, v107 offset:16288                        // 00000000A5DC: D81A3FA0 00006B0F
	v_mfma_f32_16x16x16_bf16 a[156:159], a[110:111], v[86:87], a[156:159]// 00000000A5E4: D3E1809C 0E72AD6E
	s_waitcnt vmcnt(8) lgkmcnt(4)                              // 00000000A5EC: BF8C0478
	s_barrier                                                  // 00000000A5F0: BF8A0000
	v_mfma_f32_16x16x16_bf16 v[148:151], v[52:53], a[24:25], 0 // 00000000A5F4: D3E10094 12023134
	ds_read_b128 a[96:99], v12                                 // 00000000A5FC: DBFE0000 6000000C
	buffer_load_dword v36, v1, s[8:11], 0 idxen                // 00000000A604: E0502000 80022401
	v_mfma_f32_16x16x16_bf16 v[148:151], v[54:55], a[28:29], v[148:151]// 00000000A60C: D3E10094 16523936
	v_mul_f32_e32 v140, s48, v140                              // 00000000A614: 0B191830
	v_mul_f32_e32 v144, s48, v144                              // 00000000A618: 0B212030
	s_nop 0                                                    // 00000000A61C: BF800000
	v_mfma_f32_16x16x16_bf16 v[148:151], v[56:57], a[32:33], v[148:151]// 00000000A620: D3E10094 16524138
	ds_read_b128 a[100:103], v12 offset:512                    // 00000000A628: DBFE0200 6400000C
	buffer_load_dword v37, v2, s[8:11], 0 idxen                // 00000000A630: E0502000 80022502
	v_mfma_f32_16x16x16_bf16 v[148:151], v[58:59], a[36:37], v[148:151]// 00000000A638: D3E10094 1652493A
	v_mfma_f32_16x16x16_bf16 v[148:151], v[60:61], a[40:41], v[148:151]// 00000000A640: D3E10094 1652513C
	ds_read_b128 a[104:107], v12 offset:2176                   // 00000000A648: DBFE0880 6800000C
	buffer_load_dword v38, v3, s[8:11], 0 idxen                // 00000000A650: E0502000 80022603
	v_mfma_f32_16x16x16_bf16 v[148:151], v[62:63], a[44:45], v[148:151]// 00000000A658: D3E10094 1652593E
	v_perm_b32 v100, v41, v40, s63                             // 00000000A660: D1ED0064 00FE5129
	v_perm_b32 v101, v41, v40, s64                             // 00000000A668: D1ED0065 01025129
	v_mfma_f32_16x16x16_bf16 v[148:151], v[64:65], a[48:49], v[148:151]// 00000000A670: D3E10094 16526140
	ds_read_b128 a[108:111], v12 offset:2688                   // 00000000A678: DBFE0A80 6C00000C
	buffer_load_dword v39, v4, s[8:11], 0 idxen                // 00000000A680: E0502000 80022704
	v_mfma_f32_16x16x16_bf16 v[148:151], v[66:67], a[52:53], v[148:151]// 00000000A688: D3E10094 16526942
	v_perm_b32 v102, v43, v42, s63                             // 00000000A690: D1ED0066 00FE552B
	v_perm_b32 v103, v43, v42, s64                             // 00000000A698: D1ED0067 0102552B
	v_mfma_f32_16x16x16_bf16 v[148:151], v[68:69], a[56:57], v[148:151]// 00000000A6A0: D3E10094 16527144
	ds_read_b128 v[108:111], v12 offset:8704                   // 00000000A6A8: D9FE2200 6C00000C
	buffer_load_dword v44, v232, s[20:23], 0 idxen             // 00000000A6B0: E0502000 80052CE8
	v_mfma_f32_16x16x16_bf16 v[148:151], v[70:71], a[60:61], v[148:151]// 00000000A6B8: D3E10094 16527946
	v_perm_b32 v104, v49, v48, s63                             // 00000000A6C0: D1ED0068 00FE6131
	v_perm_b32 v105, v49, v48, s64                             // 00000000A6C8: D1ED0069 01026131
	v_mfma_f32_16x16x16_bf16 v[148:151], v[72:73], a[64:65], v[148:151]// 00000000A6D0: D3E10094 16528148
	ds_read_b128 v[112:115], v12 offset:9216                   // 00000000A6D8: D9FE2400 7000000C
	buffer_load_dword v45, v233, s[20:23], 0 idxen             // 00000000A6E0: E0502000 80052DE9
	v_mfma_f32_16x16x16_bf16 v[148:151], v[74:75], a[68:69], v[148:151]// 00000000A6E8: D3E10094 1652894A
	v_perm_b32 v106, v51, v50, s63                             // 00000000A6F0: D1ED006A 00FE6533
	v_perm_b32 v107, v51, v50, s64                             // 00000000A6F8: D1ED006B 01026533
	v_mfma_f32_16x16x16_bf16 v[152:155], v[52:53], a[26:27], 0 // 00000000A700: D3E10098 12023534
	ds_read_b128 v[116:119], v12 offset:10880                  // 00000000A708: D9FE2A80 7400000C
	buffer_load_dword v46, v234, s[20:23], 0 idxen             // 00000000A710: E0502000 80052EEA
	v_mfma_f32_16x16x16_bf16 v[152:155], v[54:55], a[30:31], v[152:155]// 00000000A718: D3E10098 16623D36
	v_mov_b32_dpp v143, v140 quad_perm:[3,3,3,3] row_mask:0xf bank_mask:0xf// 00000000A720: 7F1E02FA FF00FF8C
	v_mov_b32_dpp v142, v140 quad_perm:[2,2,2,2] row_mask:0xf bank_mask:0xf// 00000000A728: 7F1C02FA FF00AA8C
	v_mov_b32_dpp v141, v140 quad_perm:[1,1,1,1] row_mask:0xf bank_mask:0xf// 00000000A730: 7F1A02FA FF00558C
	v_mov_b32_dpp v140, v140 quad_perm:[0,0,0,0] row_mask:0xf bank_mask:0xf// 00000000A738: 7F1802FA FF00008C
	v_mfma_f32_16x16x16_bf16 v[152:155], v[56:57], a[34:35], v[152:155]// 00000000A740: D3E10098 16624538
	ds_read_b128 v[120:123], v12 offset:11392                  // 00000000A748: D9FE2C80 7800000C
	buffer_load_dword v47, v235, s[20:23], 0 idxen             // 00000000A750: E0502000 80052FEB
	v_mfma_f32_16x16x16_bf16 v[152:155], v[58:59], a[38:39], v[152:155]// 00000000A758: D3E10098 16624D3A
	v_mov_b32_dpp v147, v144 quad_perm:[3,3,3,3] row_mask:0xf bank_mask:0xf// 00000000A760: 7F2602FA FF00FF90
	v_mov_b32_dpp v146, v144 quad_perm:[2,2,2,2] row_mask:0xf bank_mask:0xf// 00000000A768: 7F2402FA FF00AA90
	v_mov_b32_dpp v145, v144 quad_perm:[1,1,1,1] row_mask:0xf bank_mask:0xf// 00000000A770: 7F2202FA FF005590
	v_mov_b32_dpp v144, v144 quad_perm:[0,0,0,0] row_mask:0xf bank_mask:0xf// 00000000A778: 7F2002FA FF000090
	s_add_u32 s60, 0x80, s59                                   // 00000000A780: 803C3BFF 00000080
	v_mfma_f32_16x16x16_bf16 v[152:155], v[60:61], a[42:43], v[152:155]// 00000000A788: D3E10098 1662553C
	buffer_load_dword v11, s[24:27], 0 idxen lds               // 00000000A790: E0512000 8006000B
	v_mfma_f32_16x16x16_bf16 v[152:155], v[62:63], a[46:47], v[152:155]// 00000000A798: D3E10098 16625D3E
	s_cmp_lt_u32 s60, s58                                      // 00000000A7A0: BF0A3A3C
	s_cselect_b32 s68, s68, 0                                  // 00000000A7A4: 85448044
	s_cselect_b32 s100, s100, 0                                // 00000000A7A8: 85648064
	s_cselect_b32 s69, s69, 0                                  // 00000000A7AC: 85458045
	v_mfma_f32_16x16x16_bf16 v[152:155], v[64:65], a[50:51], v[152:155]// 00000000A7B0: D3E10098 16626540
	v_add_u32_e32 v1, s68, v1                                  // 00000000A7B8: 68020244
	v_add_u32_e32 v2, s68, v2                                  // 00000000A7BC: 68040444
	v_add_u32_e32 v3, s68, v3                                  // 00000000A7C0: 68060644
	v_add_u32_e32 v4, s68, v4                                  // 00000000A7C4: 68080844
	v_mfma_f32_16x16x16_bf16 v[152:155], v[66:67], a[54:55], v[152:155]// 00000000A7C8: D3E10098 16626D42
	v_add_u32_e32 v232, s100, v232                             // 00000000A7D0: 69D1D064
	v_add_u32_e32 v233, s100, v233                             // 00000000A7D4: 69D3D264
	v_add_u32_e32 v234, s100, v234                             // 00000000A7D8: 69D5D464
	v_add_u32_e32 v235, s100, v235                             // 00000000A7DC: 69D7D664
	v_mfma_f32_16x16x16_bf16 v[152:155], v[68:69], a[58:59], v[152:155]// 00000000A7E0: D3E10098 16627544
	s_mov_b32 m0, s81                                          // 00000000A7E8: BEFC0051
	v_add_u32_e32 v11, s69, v11                                // 00000000A7EC: 68161645
	v_mfma_f32_16x16x16_bf16 v[152:155], v[70:71], a[62:63], v[152:155]// 00000000A7F0: D3E10098 16627D46
	s_cmp_ge_u32 s59, s73                                      // 00000000A7F8: BF09493B
	s_cselect_b32 s66, s67, s66                                // 00000000A7FC: 85424243
	v_mfma_f32_16x16x16_bf16 v[152:155], v[72:73], a[66:67], v[152:155]// 00000000A800: D3E10098 16628548
	s_addk_i32 s59, 0x20                                       // 00000000A808: B73B0020
	s_nop 0                                                    // 00000000A80C: BF800000
	s_cmp_lt_i32 s59, s58                                      // 00000000A810: BF043A3B
	v_mfma_f32_16x16x16_bf16 v[152:155], v[74:75], a[70:71], v[152:155]// 00000000A814: D3E10098 16628D4A
	s_cbranch_scc0 label_104F                                  // 00000000A81C: BF84F635
	s_branch label_1052                                        // 00000000A820: BF82F637

000000000000a824 <label_1A2D>:
	buffer_atomic_add_f32 v160, v8, s[32:35], 0 idxen          // 00000000A824: E1342000 8008A008
	buffer_atomic_add_f32 v161, v9, s[32:35], 0 idxen          // 00000000A82C: E1342000 8008A109
	buffer_atomic_add_f32 v162, v8, s[32:35], 0 idxen offset:128// 00000000A834: E1342080 8008A208
	buffer_atomic_add_f32 v163, v9, s[32:35], 0 idxen offset:128// 00000000A83C: E1342080 8008A309
	v_add_u32_e32 v6, s66, v6                                  // 00000000A844: 680C0C42
	v_add_u32_e32 v7, s66, v7                                  // 00000000A848: 680E0E42
	v_add_u32_e32 v8, s66, v8                                  // 00000000A84C: 68101042
	v_add_u32_e32 v9, s66, v9                                  // 00000000A850: 68121242
	v_lshrrev_b32_e32 v32, 5, v0                               // 00000000A854: 20400085
	v_mul_i32_i24_e32 v27, 0x44, v32                           // 00000000A858: 0C3640FF 00000044
	v_and_b32_e32 v32, 31, v0                                  // 00000000A860: 2640009F
	v_mul_i32_i24_e32 v33, 2, v32                              // 00000000A864: 0C424082
	v_add_u32_e32 v27, v33, v27                                // 00000000A868: 68363721
	s_mul_i32 s60, s46, 0x220                                  // 00000000A86C: 923CFF2E 00000220
	v_add_u32_e32 v27, s60, v27                                // 00000000A874: 6836363C
	v_lshlrev_b32_e32 v27, 2, v27                              // 00000000A878: 24363682
	v_mul_f32_e32 v148, s47, v148                              // 00000000A87C: 0B29282F
	v_mul_f32_e32 v149, s47, v149                              // 00000000A880: 0B2B2A2F
	v_mul_f32_e32 v150, s47, v150                              // 00000000A884: 0B2D2C2F
	v_mul_f32_e32 v151, s47, v151                              // 00000000A888: 0B2F2E2F
	v_mul_f32_e32 v152, s47, v152                              // 00000000A88C: 0B31302F
	v_mul_f32_e32 v153, s47, v153                              // 00000000A890: 0B33322F
	v_mul_f32_e32 v154, s47, v154                              // 00000000A894: 0B35342F
	v_mul_f32_e32 v155, s47, v155                              // 00000000A898: 0B37362F
	ds_write_b64 v22, v[148:149] offset:31232                  // 00000000A89C: D89A7A00 00009416
	ds_write_b64 v22, v[150:151] offset:31744                  // 00000000A8A4: D89A7C00 00009616
	ds_write_b64 v22, v[152:153] offset:32256                  // 00000000A8AC: D89A7E00 00009816
	ds_write_b64 v22, v[154:155] offset:32768                  // 00000000A8B4: D89A8000 00009A16
	s_waitcnt lgkmcnt(0)                                       // 00000000A8BC: BF8CC07F
	s_barrier                                                  // 00000000A8C0: BF8A0000
	ds_read_b64 v[156:157], v21 offset:31232                   // 00000000A8C4: D8EC7A00 9C000015
	ds_read_b64 v[158:159], v21 offset:33280                   // 00000000A8CC: D8EC8200 9E000015
	ds_read_b64 v[160:161], v21 offset:35328                   // 00000000A8D4: D8EC8A00 A0000015
	ds_read_b64 v[162:163], v21 offset:37376                   // 00000000A8DC: D8EC9200 A2000015
	s_waitcnt lgkmcnt(0)                                       // 00000000A8E4: BF8CC07F
	s_barrier                                                  // 00000000A8E8: BF8A0000
	buffer_atomic_add_f32 v156, v6, s[32:35], 0 idxen          // 00000000A8EC: E1342000 80089C06
	buffer_atomic_add_f32 v157, v7, s[32:35], 0 idxen          // 00000000A8F4: E1342000 80089D07
	buffer_atomic_add_f32 v158, v6, s[32:35], 0 idxen offset:128// 00000000A8FC: E1342080 80089E06
	buffer_atomic_add_f32 v159, v7, s[32:35], 0 idxen offset:128// 00000000A904: E1342080 80089F07
	buffer_atomic_add_f32 v160, v8, s[32:35], 0 idxen          // 00000000A90C: E1342000 8008A008
	buffer_atomic_add_f32 v161, v9, s[32:35], 0 idxen          // 00000000A914: E1342000 8008A109
	buffer_atomic_add_f32 v162, v8, s[32:35], 0 idxen offset:128// 00000000A91C: E1342080 8008A208
	buffer_atomic_add_f32 v163, v9, s[32:35], 0 idxen offset:128// 00000000A924: E1342080 8008A309
	v_lshrrev_b32_e32 v32, 3, v0                               // 00000000A92C: 20400083
	v_mul_i32_i24_e32 v26, 2, v32                              // 00000000A930: 0C344082
	v_and_b32_e32 v32, 7, v0                                   // 00000000A934: 26400087
	v_mul_i32_i24_e32 v33, 0x44, v32                           // 00000000A938: 0C4240FF 00000044
	v_add_u32_e32 v26, v33, v26                                // 00000000A940: 68343521
	s_mul_i32 s60, s46, 0x220                                  // 00000000A944: 923CFF2E 00000220
	v_add_u32_e32 v26, s60, v26                                // 00000000A94C: 6834343C
	v_lshlrev_b32_e32 v26, 2, v26                              // 00000000A950: 24343482
	v_accvgpr_read_b32 v34, a112                               // 00000000A954: D3D84022 18000170
	v_accvgpr_read_b32 v35, a113                               // 00000000A95C: D3D84023 18000171
	v_mul_f32_e32 v34, s47, v34                                // 00000000A964: 0A44442F
	v_mul_f32_e32 v35, s47, v35                                // 00000000A968: 0A46462F
	v_cmp_u_f32_e64 s[78:79], v34, v34                         // 00000000A96C: D048004E 00024522
	v_bfe_u32 v228, v34, 16, 1                                 // 00000000A974: D1C800E4 02052122
	v_add3_u32 v228, v34, v228, v231                           // 00000000A97C: D1FF00E4 079FC922
	v_cndmask_b32_e64 v32, v228, v230, s[78:79]                // 00000000A984: D1000020 013BCDE4
	v_lshrrev_b32_e32 v32, 16, v32                             // 00000000A98C: 20404090
	v_cmp_u_f32_e64 s[78:79], v35, v35                         // 00000000A990: D048004E 00024723
	v_bfe_u32 v228, v35, 16, 1                                 // 00000000A998: D1C800E4 02052123
	v_add3_u32 v228, v35, v228, v231                           // 00000000A9A0: D1FF00E4 079FC923
	v_cndmask_b32_e64 v33, v228, v230, s[78:79]                // 00000000A9A8: D1000021 013BCDE4
	v_and_or_b32 v52, v33, v229, v32                           // 00000000A9B0: D2010034 0483CB21
	v_accvgpr_read_b32 v34, a114                               // 00000000A9B8: D3D84022 18000172
	v_accvgpr_read_b32 v35, a115                               // 00000000A9C0: D3D84023 18000173
	v_mul_f32_e32 v34, s47, v34                                // 00000000A9C8: 0A44442F
	v_mul_f32_e32 v35, s47, v35                                // 00000000A9CC: 0A46462F
	v_cmp_u_f32_e64 s[78:79], v34, v34                         // 00000000A9D0: D048004E 00024522
	v_bfe_u32 v228, v34, 16, 1                                 // 00000000A9D8: D1C800E4 02052122
	v_add3_u32 v228, v34, v228, v231                           // 00000000A9E0: D1FF00E4 079FC922
	v_cndmask_b32_e64 v32, v228, v230, s[78:79]                // 00000000A9E8: D1000020 013BCDE4
	v_lshrrev_b32_e32 v32, 16, v32                             // 00000000A9F0: 20404090
	v_cmp_u_f32_e64 s[78:79], v35, v35                         // 00000000A9F4: D048004E 00024723
	v_bfe_u32 v228, v35, 16, 1                                 // 00000000A9FC: D1C800E4 02052123
	v_add3_u32 v228, v35, v228, v231                           // 00000000AA04: D1FF00E4 079FC923
	v_cndmask_b32_e64 v33, v228, v230, s[78:79]                // 00000000AA0C: D1000021 013BCDE4
	v_and_or_b32 v53, v33, v229, v32                           // 00000000AA14: D2010035 0483CB21
	v_accvgpr_read_b32 v34, a116                               // 00000000AA1C: D3D84022 18000174
	v_accvgpr_read_b32 v35, a117                               // 00000000AA24: D3D84023 18000175
	v_mul_f32_e32 v34, s47, v34                                // 00000000AA2C: 0A44442F
	v_mul_f32_e32 v35, s47, v35                                // 00000000AA30: 0A46462F
	v_cmp_u_f32_e64 s[78:79], v34, v34                         // 00000000AA34: D048004E 00024522
	v_bfe_u32 v228, v34, 16, 1                                 // 00000000AA3C: D1C800E4 02052122
	v_add3_u32 v228, v34, v228, v231                           // 00000000AA44: D1FF00E4 079FC922
	v_cndmask_b32_e64 v32, v228, v230, s[78:79]                // 00000000AA4C: D1000020 013BCDE4
	v_lshrrev_b32_e32 v32, 16, v32                             // 00000000AA54: 20404090
	v_cmp_u_f32_e64 s[78:79], v35, v35                         // 00000000AA58: D048004E 00024723
	v_bfe_u32 v228, v35, 16, 1                                 // 00000000AA60: D1C800E4 02052123
	v_add3_u32 v228, v35, v228, v231                           // 00000000AA68: D1FF00E4 079FC923
	v_cndmask_b32_e64 v33, v228, v230, s[78:79]                // 00000000AA70: D1000021 013BCDE4
	v_and_or_b32 v54, v33, v229, v32                           // 00000000AA78: D2010036 0483CB21
	v_accvgpr_read_b32 v34, a118                               // 00000000AA80: D3D84022 18000176
	v_accvgpr_read_b32 v35, a119                               // 00000000AA88: D3D84023 18000177
	v_mul_f32_e32 v34, s47, v34                                // 00000000AA90: 0A44442F
	v_mul_f32_e32 v35, s47, v35                                // 00000000AA94: 0A46462F
	v_cmp_u_f32_e64 s[78:79], v34, v34                         // 00000000AA98: D048004E 00024522
	v_bfe_u32 v228, v34, 16, 1                                 // 00000000AAA0: D1C800E4 02052122
	v_add3_u32 v228, v34, v228, v231                           // 00000000AAA8: D1FF00E4 079FC922
	v_cndmask_b32_e64 v32, v228, v230, s[78:79]                // 00000000AAB0: D1000020 013BCDE4
	v_lshrrev_b32_e32 v32, 16, v32                             // 00000000AAB8: 20404090
	v_cmp_u_f32_e64 s[78:79], v35, v35                         // 00000000AABC: D048004E 00024723
	v_bfe_u32 v228, v35, 16, 1                                 // 00000000AAC4: D1C800E4 02052123
	v_add3_u32 v228, v35, v228, v231                           // 00000000AACC: D1FF00E4 079FC923
	v_cndmask_b32_e64 v33, v228, v230, s[78:79]                // 00000000AAD4: D1000021 013BCDE4
	v_and_or_b32 v55, v33, v229, v32                           // 00000000AADC: D2010037 0483CB21
	v_accvgpr_read_b32 v34, a120                               // 00000000AAE4: D3D84022 18000178
	v_accvgpr_read_b32 v35, a121                               // 00000000AAEC: D3D84023 18000179
	v_mul_f32_e32 v34, s47, v34                                // 00000000AAF4: 0A44442F
	v_mul_f32_e32 v35, s47, v35                                // 00000000AAF8: 0A46462F
	v_cmp_u_f32_e64 s[78:79], v34, v34                         // 00000000AAFC: D048004E 00024522
	v_bfe_u32 v228, v34, 16, 1                                 // 00000000AB04: D1C800E4 02052122
	v_add3_u32 v228, v34, v228, v231                           // 00000000AB0C: D1FF00E4 079FC922
	v_cndmask_b32_e64 v32, v228, v230, s[78:79]                // 00000000AB14: D1000020 013BCDE4
	v_lshrrev_b32_e32 v32, 16, v32                             // 00000000AB1C: 20404090
	v_cmp_u_f32_e64 s[78:79], v35, v35                         // 00000000AB20: D048004E 00024723
	v_bfe_u32 v228, v35, 16, 1                                 // 00000000AB28: D1C800E4 02052123
	v_add3_u32 v228, v35, v228, v231                           // 00000000AB30: D1FF00E4 079FC923
	v_cndmask_b32_e64 v33, v228, v230, s[78:79]                // 00000000AB38: D1000021 013BCDE4
	v_and_or_b32 v56, v33, v229, v32                           // 00000000AB40: D2010038 0483CB21
	v_accvgpr_read_b32 v34, a122                               // 00000000AB48: D3D84022 1800017A
	v_accvgpr_read_b32 v35, a123                               // 00000000AB50: D3D84023 1800017B
	v_mul_f32_e32 v34, s47, v34                                // 00000000AB58: 0A44442F
	v_mul_f32_e32 v35, s47, v35                                // 00000000AB5C: 0A46462F
	v_cmp_u_f32_e64 s[78:79], v34, v34                         // 00000000AB60: D048004E 00024522
	v_bfe_u32 v228, v34, 16, 1                                 // 00000000AB68: D1C800E4 02052122
	v_add3_u32 v228, v34, v228, v231                           // 00000000AB70: D1FF00E4 079FC922
	v_cndmask_b32_e64 v32, v228, v230, s[78:79]                // 00000000AB78: D1000020 013BCDE4
	v_lshrrev_b32_e32 v32, 16, v32                             // 00000000AB80: 20404090
	v_cmp_u_f32_e64 s[78:79], v35, v35                         // 00000000AB84: D048004E 00024723
	v_bfe_u32 v228, v35, 16, 1                                 // 00000000AB8C: D1C800E4 02052123
	v_add3_u32 v228, v35, v228, v231                           // 00000000AB94: D1FF00E4 079FC923
	v_cndmask_b32_e64 v33, v228, v230, s[78:79]                // 00000000AB9C: D1000021 013BCDE4
	v_and_or_b32 v57, v33, v229, v32                           // 00000000ABA4: D2010039 0483CB21
	v_accvgpr_read_b32 v34, a124                               // 00000000ABAC: D3D84022 1800017C
	v_accvgpr_read_b32 v35, a125                               // 00000000ABB4: D3D84023 1800017D
	v_mul_f32_e32 v34, s47, v34                                // 00000000ABBC: 0A44442F
	v_mul_f32_e32 v35, s47, v35                                // 00000000ABC0: 0A46462F
	v_cmp_u_f32_e64 s[78:79], v34, v34                         // 00000000ABC4: D048004E 00024522
	v_bfe_u32 v228, v34, 16, 1                                 // 00000000ABCC: D1C800E4 02052122
	v_add3_u32 v228, v34, v228, v231                           // 00000000ABD4: D1FF00E4 079FC922
	v_cndmask_b32_e64 v32, v228, v230, s[78:79]                // 00000000ABDC: D1000020 013BCDE4
	v_lshrrev_b32_e32 v32, 16, v32                             // 00000000ABE4: 20404090
	v_cmp_u_f32_e64 s[78:79], v35, v35                         // 00000000ABE8: D048004E 00024723
	v_bfe_u32 v228, v35, 16, 1                                 // 00000000ABF0: D1C800E4 02052123
	v_add3_u32 v228, v35, v228, v231                           // 00000000ABF8: D1FF00E4 079FC923
	v_cndmask_b32_e64 v33, v228, v230, s[78:79]                // 00000000AC00: D1000021 013BCDE4
	v_and_or_b32 v58, v33, v229, v32                           // 00000000AC08: D201003A 0483CB21
	v_accvgpr_read_b32 v34, a126                               // 00000000AC10: D3D84022 1800017E
	v_accvgpr_read_b32 v35, a127                               // 00000000AC18: D3D84023 1800017F
	v_mul_f32_e32 v34, s47, v34                                // 00000000AC20: 0A44442F
	v_mul_f32_e32 v35, s47, v35                                // 00000000AC24: 0A46462F
	v_cmp_u_f32_e64 s[78:79], v34, v34                         // 00000000AC28: D048004E 00024522
	v_bfe_u32 v228, v34, 16, 1                                 // 00000000AC30: D1C800E4 02052122
	v_add3_u32 v228, v34, v228, v231                           // 00000000AC38: D1FF00E4 079FC922
	v_cndmask_b32_e64 v32, v228, v230, s[78:79]                // 00000000AC40: D1000020 013BCDE4
	v_lshrrev_b32_e32 v32, 16, v32                             // 00000000AC48: 20404090
	v_cmp_u_f32_e64 s[78:79], v35, v35                         // 00000000AC4C: D048004E 00024723
	v_bfe_u32 v228, v35, 16, 1                                 // 00000000AC54: D1C800E4 02052123
	v_add3_u32 v228, v35, v228, v231                           // 00000000AC5C: D1FF00E4 079FC923
	v_cndmask_b32_e64 v33, v228, v230, s[78:79]                // 00000000AC64: D1000021 013BCDE4
	v_and_or_b32 v59, v33, v229, v32                           // 00000000AC6C: D201003B 0483CB21
	ds_write_b64 v27, v[52:53]                                 // 00000000AC74: D89A0000 0000341B
	ds_write_b64 v27, v[54:55] offset:544                      // 00000000AC7C: D89A0220 0000361B
	ds_write_b64 v27, v[56:57] offset:1088                     // 00000000AC84: D89A0440 0000381B
	ds_write_b64 v27, v[58:59] offset:1632                     // 00000000AC8C: D89A0660 00003A1B
	s_waitcnt lgkmcnt(0)                                       // 00000000AC94: BF8CC07F
	s_barrier                                                  // 00000000AC98: BF8A0000
	ds_read_b64 v[52:53], v26                                  // 00000000AC9C: D8EC0000 3400001A
	ds_read_b64 v[54:55], v26 offset:128                       // 00000000ACA4: D8EC0080 3600001A
	ds_read_b64 v[56:57], v26 offset:64                        // 00000000ACAC: D8EC0040 3800001A
	ds_read_b64 v[58:59], v26 offset:192                       // 00000000ACB4: D8EC00C0 3A00001A
	s_waitcnt lgkmcnt(0)                                       // 00000000ACBC: BF8CC07F
	s_mov_b32 s70, s52                                         // 00000000ACC0: BEC60034
	buffer_store_dwordx4 v[52:55], v5, s[36:39], 0 idxen       // 00000000ACC4: E07C2000 80093405
	s_mul_i32 s60, 2, s70                                      // 00000000ACCC: 923C4682
	v_add_u32_e32 v5, s60, v5                                  // 00000000ACD0: 680A0A3C
	buffer_store_dwordx4 v[56:59], v5, s[36:39], 0 idxen       // 00000000ACD4: E07C2000 80093805
	s_mul_i32 s60, 2, s70                                      // 00000000ACDC: 923C4682
	v_add_u32_e32 v5, s60, v5                                  // 00000000ACE0: 680A0A3C
	s_mul_i32 s60, 12, s70                                     // 00000000ACE4: 923C468C
	v_add_u32_e32 v5, s60, v5                                  // 00000000ACE8: 680A0A3C
	s_barrier                                                  // 00000000ACEC: BF8A0000
	s_cmp_ge_i32 1, s72                                        // 00000000ACF0: BF034881
	s_cbranch_scc1 label_1D34                                  // 00000000ACF4: BF8501D2
	v_accvgpr_read_b32 v34, a128                               // 00000000ACF8: D3D84022 18000180
	v_accvgpr_read_b32 v35, a129                               // 00000000AD00: D3D84023 18000181
	v_mul_f32_e32 v34, s47, v34                                // 00000000AD08: 0A44442F
	v_mul_f32_e32 v35, s47, v35                                // 00000000AD0C: 0A46462F
	v_cmp_u_f32_e64 s[78:79], v34, v34                         // 00000000AD10: D048004E 00024522
	v_bfe_u32 v228, v34, 16, 1                                 // 00000000AD18: D1C800E4 02052122
	v_add3_u32 v228, v34, v228, v231                           // 00000000AD20: D1FF00E4 079FC922
	v_cndmask_b32_e64 v32, v228, v230, s[78:79]                // 00000000AD28: D1000020 013BCDE4
	v_lshrrev_b32_e32 v32, 16, v32                             // 00000000AD30: 20404090
	v_cmp_u_f32_e64 s[78:79], v35, v35                         // 00000000AD34: D048004E 00024723
	v_bfe_u32 v228, v35, 16, 1                                 // 00000000AD3C: D1C800E4 02052123
	v_add3_u32 v228, v35, v228, v231                           // 00000000AD44: D1FF00E4 079FC923
	v_cndmask_b32_e64 v33, v228, v230, s[78:79]                // 00000000AD4C: D1000021 013BCDE4
	v_and_or_b32 v60, v33, v229, v32                           // 00000000AD54: D201003C 0483CB21
	v_accvgpr_read_b32 v34, a130                               // 00000000AD5C: D3D84022 18000182
	v_accvgpr_read_b32 v35, a131                               // 00000000AD64: D3D84023 18000183
	v_mul_f32_e32 v34, s47, v34                                // 00000000AD6C: 0A44442F
	v_mul_f32_e32 v35, s47, v35                                // 00000000AD70: 0A46462F
	v_cmp_u_f32_e64 s[78:79], v34, v34                         // 00000000AD74: D048004E 00024522
	v_bfe_u32 v228, v34, 16, 1                                 // 00000000AD7C: D1C800E4 02052122
	v_add3_u32 v228, v34, v228, v231                           // 00000000AD84: D1FF00E4 079FC922
	v_cndmask_b32_e64 v32, v228, v230, s[78:79]                // 00000000AD8C: D1000020 013BCDE4
	v_lshrrev_b32_e32 v32, 16, v32                             // 00000000AD94: 20404090
	v_cmp_u_f32_e64 s[78:79], v35, v35                         // 00000000AD98: D048004E 00024723
	v_bfe_u32 v228, v35, 16, 1                                 // 00000000ADA0: D1C800E4 02052123
	v_add3_u32 v228, v35, v228, v231                           // 00000000ADA8: D1FF00E4 079FC923
	v_cndmask_b32_e64 v33, v228, v230, s[78:79]                // 00000000ADB0: D1000021 013BCDE4
	v_and_or_b32 v61, v33, v229, v32                           // 00000000ADB8: D201003D 0483CB21
	v_accvgpr_read_b32 v34, a132                               // 00000000ADC0: D3D84022 18000184
	v_accvgpr_read_b32 v35, a133                               // 00000000ADC8: D3D84023 18000185
	v_mul_f32_e32 v34, s47, v34                                // 00000000ADD0: 0A44442F
	v_mul_f32_e32 v35, s47, v35                                // 00000000ADD4: 0A46462F
	v_cmp_u_f32_e64 s[78:79], v34, v34                         // 00000000ADD8: D048004E 00024522
	v_bfe_u32 v228, v34, 16, 1                                 // 00000000ADE0: D1C800E4 02052122
	v_add3_u32 v228, v34, v228, v231                           // 00000000ADE8: D1FF00E4 079FC922
	v_cndmask_b32_e64 v32, v228, v230, s[78:79]                // 00000000ADF0: D1000020 013BCDE4
	v_lshrrev_b32_e32 v32, 16, v32                             // 00000000ADF8: 20404090
	v_cmp_u_f32_e64 s[78:79], v35, v35                         // 00000000ADFC: D048004E 00024723
	v_bfe_u32 v228, v35, 16, 1                                 // 00000000AE04: D1C800E4 02052123
	v_add3_u32 v228, v35, v228, v231                           // 00000000AE0C: D1FF00E4 079FC923
	v_cndmask_b32_e64 v33, v228, v230, s[78:79]                // 00000000AE14: D1000021 013BCDE4
	v_and_or_b32 v62, v33, v229, v32                           // 00000000AE1C: D201003E 0483CB21
	v_accvgpr_read_b32 v34, a134                               // 00000000AE24: D3D84022 18000186
	v_accvgpr_read_b32 v35, a135                               // 00000000AE2C: D3D84023 18000187
	v_mul_f32_e32 v34, s47, v34                                // 00000000AE34: 0A44442F
	v_mul_f32_e32 v35, s47, v35                                // 00000000AE38: 0A46462F
	v_cmp_u_f32_e64 s[78:79], v34, v34                         // 00000000AE3C: D048004E 00024522
	v_bfe_u32 v228, v34, 16, 1                                 // 00000000AE44: D1C800E4 02052122
	v_add3_u32 v228, v34, v228, v231                           // 00000000AE4C: D1FF00E4 079FC922
	v_cndmask_b32_e64 v32, v228, v230, s[78:79]                // 00000000AE54: D1000020 013BCDE4
	v_lshrrev_b32_e32 v32, 16, v32                             // 00000000AE5C: 20404090
	v_cmp_u_f32_e64 s[78:79], v35, v35                         // 00000000AE60: D048004E 00024723
	v_bfe_u32 v228, v35, 16, 1                                 // 00000000AE68: D1C800E4 02052123
	v_add3_u32 v228, v35, v228, v231                           // 00000000AE70: D1FF00E4 079FC923
	v_cndmask_b32_e64 v33, v228, v230, s[78:79]                // 00000000AE78: D1000021 013BCDE4
	v_and_or_b32 v63, v33, v229, v32                           // 00000000AE80: D201003F 0483CB21
	v_accvgpr_read_b32 v34, a136                               // 00000000AE88: D3D84022 18000188
	v_accvgpr_read_b32 v35, a137                               // 00000000AE90: D3D84023 18000189
	v_mul_f32_e32 v34, s47, v34                                // 00000000AE98: 0A44442F
	v_mul_f32_e32 v35, s47, v35                                // 00000000AE9C: 0A46462F
	v_cmp_u_f32_e64 s[78:79], v34, v34                         // 00000000AEA0: D048004E 00024522
	v_bfe_u32 v228, v34, 16, 1                                 // 00000000AEA8: D1C800E4 02052122
	v_add3_u32 v228, v34, v228, v231                           // 00000000AEB0: D1FF00E4 079FC922
	v_cndmask_b32_e64 v32, v228, v230, s[78:79]                // 00000000AEB8: D1000020 013BCDE4
	v_lshrrev_b32_e32 v32, 16, v32                             // 00000000AEC0: 20404090
	v_cmp_u_f32_e64 s[78:79], v35, v35                         // 00000000AEC4: D048004E 00024723
	v_bfe_u32 v228, v35, 16, 1                                 // 00000000AECC: D1C800E4 02052123
	v_add3_u32 v228, v35, v228, v231                           // 00000000AED4: D1FF00E4 079FC923
	v_cndmask_b32_e64 v33, v228, v230, s[78:79]                // 00000000AEDC: D1000021 013BCDE4
	v_and_or_b32 v64, v33, v229, v32                           // 00000000AEE4: D2010040 0483CB21
	v_accvgpr_read_b32 v34, a138                               // 00000000AEEC: D3D84022 1800018A
	v_accvgpr_read_b32 v35, a139                               // 00000000AEF4: D3D84023 1800018B
	v_mul_f32_e32 v34, s47, v34                                // 00000000AEFC: 0A44442F
	v_mul_f32_e32 v35, s47, v35                                // 00000000AF00: 0A46462F
	v_cmp_u_f32_e64 s[78:79], v34, v34                         // 00000000AF04: D048004E 00024522
	v_bfe_u32 v228, v34, 16, 1                                 // 00000000AF0C: D1C800E4 02052122
	v_add3_u32 v228, v34, v228, v231                           // 00000000AF14: D1FF00E4 079FC922
	v_cndmask_b32_e64 v32, v228, v230, s[78:79]                // 00000000AF1C: D1000020 013BCDE4
	v_lshrrev_b32_e32 v32, 16, v32                             // 00000000AF24: 20404090
	v_cmp_u_f32_e64 s[78:79], v35, v35                         // 00000000AF28: D048004E 00024723
	v_bfe_u32 v228, v35, 16, 1                                 // 00000000AF30: D1C800E4 02052123
	v_add3_u32 v228, v35, v228, v231                           // 00000000AF38: D1FF00E4 079FC923
	v_cndmask_b32_e64 v33, v228, v230, s[78:79]                // 00000000AF40: D1000021 013BCDE4
	v_and_or_b32 v65, v33, v229, v32                           // 00000000AF48: D2010041 0483CB21
	v_accvgpr_read_b32 v34, a140                               // 00000000AF50: D3D84022 1800018C
	v_accvgpr_read_b32 v35, a141                               // 00000000AF58: D3D84023 1800018D
	v_mul_f32_e32 v34, s47, v34                                // 00000000AF60: 0A44442F
	v_mul_f32_e32 v35, s47, v35                                // 00000000AF64: 0A46462F
	v_cmp_u_f32_e64 s[78:79], v34, v34                         // 00000000AF68: D048004E 00024522
	v_bfe_u32 v228, v34, 16, 1                                 // 00000000AF70: D1C800E4 02052122
	v_add3_u32 v228, v34, v228, v231                           // 00000000AF78: D1FF00E4 079FC922
	v_cndmask_b32_e64 v32, v228, v230, s[78:79]                // 00000000AF80: D1000020 013BCDE4
	v_lshrrev_b32_e32 v32, 16, v32                             // 00000000AF88: 20404090
	v_cmp_u_f32_e64 s[78:79], v35, v35                         // 00000000AF8C: D048004E 00024723
	v_bfe_u32 v228, v35, 16, 1                                 // 00000000AF94: D1C800E4 02052123
	v_add3_u32 v228, v35, v228, v231                           // 00000000AF9C: D1FF00E4 079FC923
	v_cndmask_b32_e64 v33, v228, v230, s[78:79]                // 00000000AFA4: D1000021 013BCDE4
	v_and_or_b32 v66, v33, v229, v32                           // 00000000AFAC: D2010042 0483CB21
	v_accvgpr_read_b32 v34, a142                               // 00000000AFB4: D3D84022 1800018E
	v_accvgpr_read_b32 v35, a143                               // 00000000AFBC: D3D84023 1800018F
	v_mul_f32_e32 v34, s47, v34                                // 00000000AFC4: 0A44442F
	v_mul_f32_e32 v35, s47, v35                                // 00000000AFC8: 0A46462F
	v_cmp_u_f32_e64 s[78:79], v34, v34                         // 00000000AFCC: D048004E 00024522
	v_bfe_u32 v228, v34, 16, 1                                 // 00000000AFD4: D1C800E4 02052122
	v_add3_u32 v228, v34, v228, v231                           // 00000000AFDC: D1FF00E4 079FC922
	v_cndmask_b32_e64 v32, v228, v230, s[78:79]                // 00000000AFE4: D1000020 013BCDE4
	v_lshrrev_b32_e32 v32, 16, v32                             // 00000000AFEC: 20404090
	v_cmp_u_f32_e64 s[78:79], v35, v35                         // 00000000AFF0: D048004E 00024723
	v_bfe_u32 v228, v35, 16, 1                                 // 00000000AFF8: D1C800E4 02052123
	v_add3_u32 v228, v35, v228, v231                           // 00000000B000: D1FF00E4 079FC923
	v_cndmask_b32_e64 v33, v228, v230, s[78:79]                // 00000000B008: D1000021 013BCDE4
	v_and_or_b32 v67, v33, v229, v32                           // 00000000B010: D2010043 0483CB21
	ds_write_b64 v27, v[60:61] offset:8704                     // 00000000B018: D89A2200 00003C1B
	ds_write_b64 v27, v[62:63] offset:9248                     // 00000000B020: D89A2420 00003E1B
	ds_write_b64 v27, v[64:65] offset:9792                     // 00000000B028: D89A2640 0000401B
	ds_write_b64 v27, v[66:67] offset:10336                    // 00000000B030: D89A2860 0000421B
	s_waitcnt lgkmcnt(0)                                       // 00000000B038: BF8CC07F
	s_barrier                                                  // 00000000B03C: BF8A0000
	ds_read_b64 v[60:61], v26 offset:8704                      // 00000000B040: D8EC2200 3C00001A
	ds_read_b64 v[62:63], v26 offset:8832                      // 00000000B048: D8EC2280 3E00001A
	ds_read_b64 v[64:65], v26 offset:8768                      // 00000000B050: D8EC2240 4000001A
	ds_read_b64 v[66:67], v26 offset:8896                      // 00000000B058: D8EC22C0 4200001A
	s_waitcnt lgkmcnt(0)                                       // 00000000B060: BF8CC07F
	s_mov_b32 s70, s52                                         // 00000000B064: BEC60034
	buffer_store_dwordx4 v[60:63], v5, s[36:39], 0 idxen       // 00000000B068: E07C2000 80093C05
	s_mul_i32 s60, 2, s70                                      // 00000000B070: 923C4682
	v_add_u32_e32 v5, s60, v5                                  // 00000000B074: 680A0A3C
	buffer_store_dwordx4 v[64:67], v5, s[36:39], 0 idxen       // 00000000B078: E07C2000 80094005
	s_mul_i32 s60, 2, s70                                      // 00000000B080: 923C4682
	v_add_u32_e32 v5, s60, v5                                  // 00000000B084: 680A0A3C
	s_mul_i32 s60, 12, s70                                     // 00000000B088: 923C468C
	v_add_u32_e32 v5, s60, v5                                  // 00000000B08C: 680A0A3C
	s_barrier                                                  // 00000000B090: BF8A0000
	s_cmp_ge_i32 2, s72                                        // 00000000B094: BF034882
	s_cbranch_scc1 label_1D34                                  // 00000000B098: BF8500E9
	v_accvgpr_read_b32 v34, a144                               // 00000000B09C: D3D84022 18000190
	v_accvgpr_read_b32 v35, a145                               // 00000000B0A4: D3D84023 18000191
	v_mul_f32_e32 v34, s47, v34                                // 00000000B0AC: 0A44442F
	v_mul_f32_e32 v35, s47, v35                                // 00000000B0B0: 0A46462F
	v_cmp_u_f32_e64 s[78:79], v34, v34                         // 00000000B0B4: D048004E 00024522
	v_bfe_u32 v228, v34, 16, 1                                 // 00000000B0BC: D1C800E4 02052122
	v_add3_u32 v228, v34, v228, v231                           // 00000000B0C4: D1FF00E4 079FC922
	v_cndmask_b32_e64 v32, v228, v230, s[78:79]                // 00000000B0CC: D1000020 013BCDE4
	v_lshrrev_b32_e32 v32, 16, v32                             // 00000000B0D4: 20404090
	v_cmp_u_f32_e64 s[78:79], v35, v35                         // 00000000B0D8: D048004E 00024723
	v_bfe_u32 v228, v35, 16, 1                                 // 00000000B0E0: D1C800E4 02052123
	v_add3_u32 v228, v35, v228, v231                           // 00000000B0E8: D1FF00E4 079FC923
	v_cndmask_b32_e64 v33, v228, v230, s[78:79]                // 00000000B0F0: D1000021 013BCDE4
	v_and_or_b32 v68, v33, v229, v32                           // 00000000B0F8: D2010044 0483CB21
	v_accvgpr_read_b32 v34, a146                               // 00000000B100: D3D84022 18000192
	v_accvgpr_read_b32 v35, a147                               // 00000000B108: D3D84023 18000193
	v_mul_f32_e32 v34, s47, v34                                // 00000000B110: 0A44442F
	v_mul_f32_e32 v35, s47, v35                                // 00000000B114: 0A46462F
	v_cmp_u_f32_e64 s[78:79], v34, v34                         // 00000000B118: D048004E 00024522
	v_bfe_u32 v228, v34, 16, 1                                 // 00000000B120: D1C800E4 02052122
	v_add3_u32 v228, v34, v228, v231                           // 00000000B128: D1FF00E4 079FC922
	v_cndmask_b32_e64 v32, v228, v230, s[78:79]                // 00000000B130: D1000020 013BCDE4
	v_lshrrev_b32_e32 v32, 16, v32                             // 00000000B138: 20404090
	v_cmp_u_f32_e64 s[78:79], v35, v35                         // 00000000B13C: D048004E 00024723
	v_bfe_u32 v228, v35, 16, 1                                 // 00000000B144: D1C800E4 02052123
	v_add3_u32 v228, v35, v228, v231                           // 00000000B14C: D1FF00E4 079FC923
	v_cndmask_b32_e64 v33, v228, v230, s[78:79]                // 00000000B154: D1000021 013BCDE4
	v_and_or_b32 v69, v33, v229, v32                           // 00000000B15C: D2010045 0483CB21
	v_accvgpr_read_b32 v34, a148                               // 00000000B164: D3D84022 18000194
	v_accvgpr_read_b32 v35, a149                               // 00000000B16C: D3D84023 18000195
	v_mul_f32_e32 v34, s47, v34                                // 00000000B174: 0A44442F
	v_mul_f32_e32 v35, s47, v35                                // 00000000B178: 0A46462F
	v_cmp_u_f32_e64 s[78:79], v34, v34                         // 00000000B17C: D048004E 00024522
	v_bfe_u32 v228, v34, 16, 1                                 // 00000000B184: D1C800E4 02052122
	v_add3_u32 v228, v34, v228, v231                           // 00000000B18C: D1FF00E4 079FC922
	v_cndmask_b32_e64 v32, v228, v230, s[78:79]                // 00000000B194: D1000020 013BCDE4
	v_lshrrev_b32_e32 v32, 16, v32                             // 00000000B19C: 20404090
	v_cmp_u_f32_e64 s[78:79], v35, v35                         // 00000000B1A0: D048004E 00024723
	v_bfe_u32 v228, v35, 16, 1                                 // 00000000B1A8: D1C800E4 02052123
	v_add3_u32 v228, v35, v228, v231                           // 00000000B1B0: D1FF00E4 079FC923
	v_cndmask_b32_e64 v33, v228, v230, s[78:79]                // 00000000B1B8: D1000021 013BCDE4
	v_and_or_b32 v70, v33, v229, v32                           // 00000000B1C0: D2010046 0483CB21
	v_accvgpr_read_b32 v34, a150                               // 00000000B1C8: D3D84022 18000196
	v_accvgpr_read_b32 v35, a151                               // 00000000B1D0: D3D84023 18000197
	v_mul_f32_e32 v34, s47, v34                                // 00000000B1D8: 0A44442F
	v_mul_f32_e32 v35, s47, v35                                // 00000000B1DC: 0A46462F
	v_cmp_u_f32_e64 s[78:79], v34, v34                         // 00000000B1E0: D048004E 00024522
	v_bfe_u32 v228, v34, 16, 1                                 // 00000000B1E8: D1C800E4 02052122
	v_add3_u32 v228, v34, v228, v231                           // 00000000B1F0: D1FF00E4 079FC922
	v_cndmask_b32_e64 v32, v228, v230, s[78:79]                // 00000000B1F8: D1000020 013BCDE4
	v_lshrrev_b32_e32 v32, 16, v32                             // 00000000B200: 20404090
	v_cmp_u_f32_e64 s[78:79], v35, v35                         // 00000000B204: D048004E 00024723
	v_bfe_u32 v228, v35, 16, 1                                 // 00000000B20C: D1C800E4 02052123
	v_add3_u32 v228, v35, v228, v231                           // 00000000B214: D1FF00E4 079FC923
	v_cndmask_b32_e64 v33, v228, v230, s[78:79]                // 00000000B21C: D1000021 013BCDE4
	v_and_or_b32 v71, v33, v229, v32                           // 00000000B224: D2010047 0483CB21
	v_accvgpr_read_b32 v34, a152                               // 00000000B22C: D3D84022 18000198
	v_accvgpr_read_b32 v35, a153                               // 00000000B234: D3D84023 18000199
	v_mul_f32_e32 v34, s47, v34                                // 00000000B23C: 0A44442F
	v_mul_f32_e32 v35, s47, v35                                // 00000000B240: 0A46462F
	v_cmp_u_f32_e64 s[78:79], v34, v34                         // 00000000B244: D048004E 00024522
	v_bfe_u32 v228, v34, 16, 1                                 // 00000000B24C: D1C800E4 02052122
	v_add3_u32 v228, v34, v228, v231                           // 00000000B254: D1FF00E4 079FC922
	v_cndmask_b32_e64 v32, v228, v230, s[78:79]                // 00000000B25C: D1000020 013BCDE4
	v_lshrrev_b32_e32 v32, 16, v32                             // 00000000B264: 20404090
	v_cmp_u_f32_e64 s[78:79], v35, v35                         // 00000000B268: D048004E 00024723
	v_bfe_u32 v228, v35, 16, 1                                 // 00000000B270: D1C800E4 02052123
	v_add3_u32 v228, v35, v228, v231                           // 00000000B278: D1FF00E4 079FC923
	v_cndmask_b32_e64 v33, v228, v230, s[78:79]                // 00000000B280: D1000021 013BCDE4
	v_and_or_b32 v72, v33, v229, v32                           // 00000000B288: D2010048 0483CB21
	v_accvgpr_read_b32 v34, a154                               // 00000000B290: D3D84022 1800019A
	v_accvgpr_read_b32 v35, a155                               // 00000000B298: D3D84023 1800019B
	v_mul_f32_e32 v34, s47, v34                                // 00000000B2A0: 0A44442F
	v_mul_f32_e32 v35, s47, v35                                // 00000000B2A4: 0A46462F
	v_cmp_u_f32_e64 s[78:79], v34, v34                         // 00000000B2A8: D048004E 00024522
	v_bfe_u32 v228, v34, 16, 1                                 // 00000000B2B0: D1C800E4 02052122
	v_add3_u32 v228, v34, v228, v231                           // 00000000B2B8: D1FF00E4 079FC922
	v_cndmask_b32_e64 v32, v228, v230, s[78:79]                // 00000000B2C0: D1000020 013BCDE4
	v_lshrrev_b32_e32 v32, 16, v32                             // 00000000B2C8: 20404090
	v_cmp_u_f32_e64 s[78:79], v35, v35                         // 00000000B2CC: D048004E 00024723
	v_bfe_u32 v228, v35, 16, 1                                 // 00000000B2D4: D1C800E4 02052123
	v_add3_u32 v228, v35, v228, v231                           // 00000000B2DC: D1FF00E4 079FC923
	v_cndmask_b32_e64 v33, v228, v230, s[78:79]                // 00000000B2E4: D1000021 013BCDE4
	v_and_or_b32 v73, v33, v229, v32                           // 00000000B2EC: D2010049 0483CB21
	v_accvgpr_read_b32 v34, a156                               // 00000000B2F4: D3D84022 1800019C
	v_accvgpr_read_b32 v35, a157                               // 00000000B2FC: D3D84023 1800019D
	v_mul_f32_e32 v34, s47, v34                                // 00000000B304: 0A44442F
	v_mul_f32_e32 v35, s47, v35                                // 00000000B308: 0A46462F
	v_cmp_u_f32_e64 s[78:79], v34, v34                         // 00000000B30C: D048004E 00024522
	v_bfe_u32 v228, v34, 16, 1                                 // 00000000B314: D1C800E4 02052122
	v_add3_u32 v228, v34, v228, v231                           // 00000000B31C: D1FF00E4 079FC922
	v_cndmask_b32_e64 v32, v228, v230, s[78:79]                // 00000000B324: D1000020 013BCDE4
	v_lshrrev_b32_e32 v32, 16, v32                             // 00000000B32C: 20404090
	v_cmp_u_f32_e64 s[78:79], v35, v35                         // 00000000B330: D048004E 00024723
	v_bfe_u32 v228, v35, 16, 1                                 // 00000000B338: D1C800E4 02052123
	v_add3_u32 v228, v35, v228, v231                           // 00000000B340: D1FF00E4 079FC923
	v_cndmask_b32_e64 v33, v228, v230, s[78:79]                // 00000000B348: D1000021 013BCDE4
	v_and_or_b32 v74, v33, v229, v32                           // 00000000B350: D201004A 0483CB21
	v_accvgpr_read_b32 v34, a158                               // 00000000B358: D3D84022 1800019E
	v_accvgpr_read_b32 v35, a159                               // 00000000B360: D3D84023 1800019F
	v_mul_f32_e32 v34, s47, v34                                // 00000000B368: 0A44442F
	v_mul_f32_e32 v35, s47, v35                                // 00000000B36C: 0A46462F
	v_cmp_u_f32_e64 s[78:79], v34, v34                         // 00000000B370: D048004E 00024522
	v_bfe_u32 v228, v34, 16, 1                                 // 00000000B378: D1C800E4 02052122
	v_add3_u32 v228, v34, v228, v231                           // 00000000B380: D1FF00E4 079FC922
	v_cndmask_b32_e64 v32, v228, v230, s[78:79]                // 00000000B388: D1000020 013BCDE4
	v_lshrrev_b32_e32 v32, 16, v32                             // 00000000B390: 20404090
	v_cmp_u_f32_e64 s[78:79], v35, v35                         // 00000000B394: D048004E 00024723
	v_bfe_u32 v228, v35, 16, 1                                 // 00000000B39C: D1C800E4 02052123
	v_add3_u32 v228, v35, v228, v231                           // 00000000B3A4: D1FF00E4 079FC923
	v_cndmask_b32_e64 v33, v228, v230, s[78:79]                // 00000000B3AC: D1000021 013BCDE4
	v_and_or_b32 v75, v33, v229, v32                           // 00000000B3B4: D201004B 0483CB21
	ds_write_b64 v27, v[68:69] offset:17408                    // 00000000B3BC: D89A4400 0000441B
	ds_write_b64 v27, v[70:71] offset:17952                    // 00000000B3C4: D89A4620 0000461B
	ds_write_b64 v27, v[72:73] offset:18496                    // 00000000B3CC: D89A4840 0000481B
	ds_write_b64 v27, v[74:75] offset:19040                    // 00000000B3D4: D89A4A60 00004A1B
	s_waitcnt lgkmcnt(0)                                       // 00000000B3DC: BF8CC07F
	s_barrier                                                  // 00000000B3E0: BF8A0000
	ds_read_b64 v[68:69], v26 offset:17408                     // 00000000B3E4: D8EC4400 4400001A
	ds_read_b64 v[70:71], v26 offset:17536                     // 00000000B3EC: D8EC4480 4600001A
	ds_read_b64 v[72:73], v26 offset:17472                     // 00000000B3F4: D8EC4440 4800001A
	ds_read_b64 v[74:75], v26 offset:17600                     // 00000000B3FC: D8EC44C0 4A00001A
	s_waitcnt lgkmcnt(0)                                       // 00000000B404: BF8CC07F
	s_mov_b32 s70, s52                                         // 00000000B408: BEC60034
	buffer_store_dwordx4 v[68:71], v5, s[36:39], 0 idxen       // 00000000B40C: E07C2000 80094405
	s_mul_i32 s60, 2, s70                                      // 00000000B414: 923C4682
	v_add_u32_e32 v5, s60, v5                                  // 00000000B418: 680A0A3C
	buffer_store_dwordx4 v[72:75], v5, s[36:39], 0 idxen       // 00000000B41C: E07C2000 80094805
	s_mul_i32 s60, 2, s70                                      // 00000000B424: 923C4682
	v_add_u32_e32 v5, s60, v5                                  // 00000000B428: 680A0A3C
	s_mul_i32 s60, 12, s70                                     // 00000000B42C: 923C468C
	v_add_u32_e32 v5, s60, v5                                  // 00000000B430: 680A0A3C
	s_barrier                                                  // 00000000B434: BF8A0000
	s_cmp_ge_i32 3, s72                                        // 00000000B438: BF034883
	s_cbranch_scc1 label_1D34                                  // 00000000B43C: BF850000

000000000000b440 <label_1D34>:
	v_mov_b32_e32 v34, v180                                    // 00000000B440: 7E4403B4
	v_mov_b32_e32 v35, v181                                    // 00000000B444: 7E4603B5
	v_cmp_u_f32_e64 s[78:79], v34, v34                         // 00000000B448: D048004E 00024522
	v_bfe_u32 v228, v34, 16, 1                                 // 00000000B450: D1C800E4 02052122
	v_add3_u32 v228, v34, v228, v231                           // 00000000B458: D1FF00E4 079FC922
	v_cndmask_b32_e64 v32, v228, v230, s[78:79]                // 00000000B460: D1000020 013BCDE4
	v_lshrrev_b32_e32 v32, 16, v32                             // 00000000B468: 20404090
	v_cmp_u_f32_e64 s[78:79], v35, v35                         // 00000000B46C: D048004E 00024723
	v_bfe_u32 v228, v35, 16, 1                                 // 00000000B474: D1C800E4 02052123
	v_add3_u32 v228, v35, v228, v231                           // 00000000B47C: D1FF00E4 079FC923
	v_cndmask_b32_e64 v33, v228, v230, s[78:79]                // 00000000B484: D1000021 013BCDE4
	v_and_or_b32 v180, v33, v229, v32                          // 00000000B48C: D20100B4 0483CB21
	v_mov_b32_e32 v34, v182                                    // 00000000B494: 7E4403B6
	v_mov_b32_e32 v35, v183                                    // 00000000B498: 7E4603B7
	v_cmp_u_f32_e64 s[78:79], v34, v34                         // 00000000B49C: D048004E 00024522
	v_bfe_u32 v228, v34, 16, 1                                 // 00000000B4A4: D1C800E4 02052122
	v_add3_u32 v228, v34, v228, v231                           // 00000000B4AC: D1FF00E4 079FC922
	v_cndmask_b32_e64 v32, v228, v230, s[78:79]                // 00000000B4B4: D1000020 013BCDE4
	v_lshrrev_b32_e32 v32, 16, v32                             // 00000000B4BC: 20404090
	v_cmp_u_f32_e64 s[78:79], v35, v35                         // 00000000B4C0: D048004E 00024723
	v_bfe_u32 v228, v35, 16, 1                                 // 00000000B4C8: D1C800E4 02052123
	v_add3_u32 v228, v35, v228, v231                           // 00000000B4D0: D1FF00E4 079FC923
	v_cndmask_b32_e64 v33, v228, v230, s[78:79]                // 00000000B4D8: D1000021 013BCDE4
	v_and_or_b32 v181, v33, v229, v32                          // 00000000B4E0: D20100B5 0483CB21
	v_mov_b32_e32 v34, v184                                    // 00000000B4E8: 7E4403B8
	v_mov_b32_e32 v35, v185                                    // 00000000B4EC: 7E4603B9
	v_cmp_u_f32_e64 s[78:79], v34, v34                         // 00000000B4F0: D048004E 00024522
	v_bfe_u32 v228, v34, 16, 1                                 // 00000000B4F8: D1C800E4 02052122
	v_add3_u32 v228, v34, v228, v231                           // 00000000B500: D1FF00E4 079FC922
	v_cndmask_b32_e64 v32, v228, v230, s[78:79]                // 00000000B508: D1000020 013BCDE4
	v_lshrrev_b32_e32 v32, 16, v32                             // 00000000B510: 20404090
	v_cmp_u_f32_e64 s[78:79], v35, v35                         // 00000000B514: D048004E 00024723
	v_bfe_u32 v228, v35, 16, 1                                 // 00000000B51C: D1C800E4 02052123
	v_add3_u32 v228, v35, v228, v231                           // 00000000B524: D1FF00E4 079FC923
	v_cndmask_b32_e64 v33, v228, v230, s[78:79]                // 00000000B52C: D1000021 013BCDE4
	v_and_or_b32 v182, v33, v229, v32                          // 00000000B534: D20100B6 0483CB21
	v_mov_b32_e32 v34, v186                                    // 00000000B53C: 7E4403BA
	v_mov_b32_e32 v35, v187                                    // 00000000B540: 7E4603BB
	v_cmp_u_f32_e64 s[78:79], v34, v34                         // 00000000B544: D048004E 00024522
	v_bfe_u32 v228, v34, 16, 1                                 // 00000000B54C: D1C800E4 02052122
	v_add3_u32 v228, v34, v228, v231                           // 00000000B554: D1FF00E4 079FC922
	v_cndmask_b32_e64 v32, v228, v230, s[78:79]                // 00000000B55C: D1000020 013BCDE4
	v_lshrrev_b32_e32 v32, 16, v32                             // 00000000B564: 20404090
	v_cmp_u_f32_e64 s[78:79], v35, v35                         // 00000000B568: D048004E 00024723
	v_bfe_u32 v228, v35, 16, 1                                 // 00000000B570: D1C800E4 02052123
	v_add3_u32 v228, v35, v228, v231                           // 00000000B578: D1FF00E4 079FC923
	v_cndmask_b32_e64 v33, v228, v230, s[78:79]                // 00000000B580: D1000021 013BCDE4
	v_and_or_b32 v183, v33, v229, v32                          // 00000000B588: D20100B7 0483CB21
	v_mov_b32_e32 v34, v188                                    // 00000000B590: 7E4403BC
	v_mov_b32_e32 v35, v189                                    // 00000000B594: 7E4603BD
	v_cmp_u_f32_e64 s[78:79], v34, v34                         // 00000000B598: D048004E 00024522
	v_bfe_u32 v228, v34, 16, 1                                 // 00000000B5A0: D1C800E4 02052122
	v_add3_u32 v228, v34, v228, v231                           // 00000000B5A8: D1FF00E4 079FC922
	v_cndmask_b32_e64 v32, v228, v230, s[78:79]                // 00000000B5B0: D1000020 013BCDE4
	v_lshrrev_b32_e32 v32, 16, v32                             // 00000000B5B8: 20404090
	v_cmp_u_f32_e64 s[78:79], v35, v35                         // 00000000B5BC: D048004E 00024723
	v_bfe_u32 v228, v35, 16, 1                                 // 00000000B5C4: D1C800E4 02052123
	v_add3_u32 v228, v35, v228, v231                           // 00000000B5CC: D1FF00E4 079FC923
	v_cndmask_b32_e64 v33, v228, v230, s[78:79]                // 00000000B5D4: D1000021 013BCDE4
	v_and_or_b32 v184, v33, v229, v32                          // 00000000B5DC: D20100B8 0483CB21
	v_mov_b32_e32 v34, v190                                    // 00000000B5E4: 7E4403BE
	v_mov_b32_e32 v35, v191                                    // 00000000B5E8: 7E4603BF
	v_cmp_u_f32_e64 s[78:79], v34, v34                         // 00000000B5EC: D048004E 00024522
	v_bfe_u32 v228, v34, 16, 1                                 // 00000000B5F4: D1C800E4 02052122
	v_add3_u32 v228, v34, v228, v231                           // 00000000B5FC: D1FF00E4 079FC922
	v_cndmask_b32_e64 v32, v228, v230, s[78:79]                // 00000000B604: D1000020 013BCDE4
	v_lshrrev_b32_e32 v32, 16, v32                             // 00000000B60C: 20404090
	v_cmp_u_f32_e64 s[78:79], v35, v35                         // 00000000B610: D048004E 00024723
	v_bfe_u32 v228, v35, 16, 1                                 // 00000000B618: D1C800E4 02052123
	v_add3_u32 v228, v35, v228, v231                           // 00000000B620: D1FF00E4 079FC923
	v_cndmask_b32_e64 v33, v228, v230, s[78:79]                // 00000000B628: D1000021 013BCDE4
	v_and_or_b32 v185, v33, v229, v32                          // 00000000B630: D20100B9 0483CB21
	v_mov_b32_e32 v34, v192                                    // 00000000B638: 7E4403C0
	v_mov_b32_e32 v35, v193                                    // 00000000B63C: 7E4603C1
	v_cmp_u_f32_e64 s[78:79], v34, v34                         // 00000000B640: D048004E 00024522
	v_bfe_u32 v228, v34, 16, 1                                 // 00000000B648: D1C800E4 02052122
	v_add3_u32 v228, v34, v228, v231                           // 00000000B650: D1FF00E4 079FC922
	v_cndmask_b32_e64 v32, v228, v230, s[78:79]                // 00000000B658: D1000020 013BCDE4
	v_lshrrev_b32_e32 v32, 16, v32                             // 00000000B660: 20404090
	v_cmp_u_f32_e64 s[78:79], v35, v35                         // 00000000B664: D048004E 00024723
	v_bfe_u32 v228, v35, 16, 1                                 // 00000000B66C: D1C800E4 02052123
	v_add3_u32 v228, v35, v228, v231                           // 00000000B674: D1FF00E4 079FC923
	v_cndmask_b32_e64 v33, v228, v230, s[78:79]                // 00000000B67C: D1000021 013BCDE4
	v_and_or_b32 v186, v33, v229, v32                          // 00000000B684: D20100BA 0483CB21
	v_mov_b32_e32 v34, v194                                    // 00000000B68C: 7E4403C2
	v_mov_b32_e32 v35, v195                                    // 00000000B690: 7E4603C3
	v_cmp_u_f32_e64 s[78:79], v34, v34                         // 00000000B694: D048004E 00024522
	v_bfe_u32 v228, v34, 16, 1                                 // 00000000B69C: D1C800E4 02052122
	v_add3_u32 v228, v34, v228, v231                           // 00000000B6A4: D1FF00E4 079FC922
	v_cndmask_b32_e64 v32, v228, v230, s[78:79]                // 00000000B6AC: D1000020 013BCDE4
	v_lshrrev_b32_e32 v32, 16, v32                             // 00000000B6B4: 20404090
	v_cmp_u_f32_e64 s[78:79], v35, v35                         // 00000000B6B8: D048004E 00024723
	v_bfe_u32 v228, v35, 16, 1                                 // 00000000B6C0: D1C800E4 02052123
	v_add3_u32 v228, v35, v228, v231                           // 00000000B6C8: D1FF00E4 079FC923
	v_cndmask_b32_e64 v33, v228, v230, s[78:79]                // 00000000B6D0: D1000021 013BCDE4
	v_and_or_b32 v187, v33, v229, v32                          // 00000000B6D8: D20100BB 0483CB21
	ds_write_b64 v27, v[180:181]                               // 00000000B6E0: D89A0000 0000B41B
	ds_write_b64 v27, v[182:183] offset:544                    // 00000000B6E8: D89A0220 0000B61B
	ds_write_b64 v27, v[184:185] offset:1088                   // 00000000B6F0: D89A0440 0000B81B
	ds_write_b64 v27, v[186:187] offset:1632                   // 00000000B6F8: D89A0660 0000BA1B
	s_waitcnt lgkmcnt(0)                                       // 00000000B700: BF8CC07F
	s_barrier                                                  // 00000000B704: BF8A0000
	ds_read_b64 v[180:181], v26                                // 00000000B708: D8EC0000 B400001A
	ds_read_b64 v[182:183], v26 offset:128                     // 00000000B710: D8EC0080 B600001A
	ds_read_b64 v[184:185], v26 offset:64                      // 00000000B718: D8EC0040 B800001A
	ds_read_b64 v[186:187], v26 offset:192                     // 00000000B720: D8EC00C0 BA00001A
	s_waitcnt lgkmcnt(0)                                       // 00000000B728: BF8CC07F
	s_mov_b32 s70, s53                                         // 00000000B72C: BEC60035
	buffer_store_dwordx4 v[180:183], v10, s[40:43], 0 idxen    // 00000000B730: E07C2000 800AB40A
	s_mul_i32 s60, 2, s70                                      // 00000000B738: 923C4682
	v_add_u32_e32 v10, s60, v10                                // 00000000B73C: 6814143C
	buffer_store_dwordx4 v[184:187], v10, s[40:43], 0 idxen    // 00000000B740: E07C2000 800AB80A
	s_mul_i32 s60, 2, s70                                      // 00000000B748: 923C4682
	v_add_u32_e32 v10, s60, v10                                // 00000000B74C: 6814143C
	s_mul_i32 s60, 12, s70                                     // 00000000B750: 923C468C
	v_add_u32_e32 v10, s60, v10                                // 00000000B754: 6814143C
	s_cmp_ge_i32 1, s72                                        // 00000000B758: BF034881
	s_cbranch_scc1 label_1F8C                                  // 00000000B75C: BF850190
	v_mov_b32_e32 v34, v196                                    // 00000000B760: 7E4403C4
	v_mov_b32_e32 v35, v197                                    // 00000000B764: 7E4603C5
	v_cmp_u_f32_e64 s[78:79], v34, v34                         // 00000000B768: D048004E 00024522
	v_bfe_u32 v228, v34, 16, 1                                 // 00000000B770: D1C800E4 02052122
	v_add3_u32 v228, v34, v228, v231                           // 00000000B778: D1FF00E4 079FC922
	v_cndmask_b32_e64 v32, v228, v230, s[78:79]                // 00000000B780: D1000020 013BCDE4
	v_lshrrev_b32_e32 v32, 16, v32                             // 00000000B788: 20404090
	v_cmp_u_f32_e64 s[78:79], v35, v35                         // 00000000B78C: D048004E 00024723
	v_bfe_u32 v228, v35, 16, 1                                 // 00000000B794: D1C800E4 02052123
	v_add3_u32 v228, v35, v228, v231                           // 00000000B79C: D1FF00E4 079FC923
	v_cndmask_b32_e64 v33, v228, v230, s[78:79]                // 00000000B7A4: D1000021 013BCDE4
	v_and_or_b32 v188, v33, v229, v32                          // 00000000B7AC: D20100BC 0483CB21
	v_mov_b32_e32 v34, v198                                    // 00000000B7B4: 7E4403C6
	v_mov_b32_e32 v35, v199                                    // 00000000B7B8: 7E4603C7
	v_cmp_u_f32_e64 s[78:79], v34, v34                         // 00000000B7BC: D048004E 00024522
	v_bfe_u32 v228, v34, 16, 1                                 // 00000000B7C4: D1C800E4 02052122
	v_add3_u32 v228, v34, v228, v231                           // 00000000B7CC: D1FF00E4 079FC922
	v_cndmask_b32_e64 v32, v228, v230, s[78:79]                // 00000000B7D4: D1000020 013BCDE4
	v_lshrrev_b32_e32 v32, 16, v32                             // 00000000B7DC: 20404090
	v_cmp_u_f32_e64 s[78:79], v35, v35                         // 00000000B7E0: D048004E 00024723
	v_bfe_u32 v228, v35, 16, 1                                 // 00000000B7E8: D1C800E4 02052123
	v_add3_u32 v228, v35, v228, v231                           // 00000000B7F0: D1FF00E4 079FC923
	v_cndmask_b32_e64 v33, v228, v230, s[78:79]                // 00000000B7F8: D1000021 013BCDE4
	v_and_or_b32 v189, v33, v229, v32                          // 00000000B800: D20100BD 0483CB21
	v_mov_b32_e32 v34, v200                                    // 00000000B808: 7E4403C8
	v_mov_b32_e32 v35, v201                                    // 00000000B80C: 7E4603C9
	v_cmp_u_f32_e64 s[78:79], v34, v34                         // 00000000B810: D048004E 00024522
	v_bfe_u32 v228, v34, 16, 1                                 // 00000000B818: D1C800E4 02052122
	v_add3_u32 v228, v34, v228, v231                           // 00000000B820: D1FF00E4 079FC922
	v_cndmask_b32_e64 v32, v228, v230, s[78:79]                // 00000000B828: D1000020 013BCDE4
	v_lshrrev_b32_e32 v32, 16, v32                             // 00000000B830: 20404090
	v_cmp_u_f32_e64 s[78:79], v35, v35                         // 00000000B834: D048004E 00024723
	v_bfe_u32 v228, v35, 16, 1                                 // 00000000B83C: D1C800E4 02052123
	v_add3_u32 v228, v35, v228, v231                           // 00000000B844: D1FF00E4 079FC923
	v_cndmask_b32_e64 v33, v228, v230, s[78:79]                // 00000000B84C: D1000021 013BCDE4
	v_and_or_b32 v190, v33, v229, v32                          // 00000000B854: D20100BE 0483CB21
	v_mov_b32_e32 v34, v202                                    // 00000000B85C: 7E4403CA
	v_mov_b32_e32 v35, v203                                    // 00000000B860: 7E4603CB
	v_cmp_u_f32_e64 s[78:79], v34, v34                         // 00000000B864: D048004E 00024522
	v_bfe_u32 v228, v34, 16, 1                                 // 00000000B86C: D1C800E4 02052122
	v_add3_u32 v228, v34, v228, v231                           // 00000000B874: D1FF00E4 079FC922
	v_cndmask_b32_e64 v32, v228, v230, s[78:79]                // 00000000B87C: D1000020 013BCDE4
	v_lshrrev_b32_e32 v32, 16, v32                             // 00000000B884: 20404090
	v_cmp_u_f32_e64 s[78:79], v35, v35                         // 00000000B888: D048004E 00024723
	v_bfe_u32 v228, v35, 16, 1                                 // 00000000B890: D1C800E4 02052123
	v_add3_u32 v228, v35, v228, v231                           // 00000000B898: D1FF00E4 079FC923
	v_cndmask_b32_e64 v33, v228, v230, s[78:79]                // 00000000B8A0: D1000021 013BCDE4
	v_and_or_b32 v191, v33, v229, v32                          // 00000000B8A8: D20100BF 0483CB21
	v_mov_b32_e32 v34, v204                                    // 00000000B8B0: 7E4403CC
	v_mov_b32_e32 v35, v205                                    // 00000000B8B4: 7E4603CD
	v_cmp_u_f32_e64 s[78:79], v34, v34                         // 00000000B8B8: D048004E 00024522
	v_bfe_u32 v228, v34, 16, 1                                 // 00000000B8C0: D1C800E4 02052122
	v_add3_u32 v228, v34, v228, v231                           // 00000000B8C8: D1FF00E4 079FC922
	v_cndmask_b32_e64 v32, v228, v230, s[78:79]                // 00000000B8D0: D1000020 013BCDE4
	v_lshrrev_b32_e32 v32, 16, v32                             // 00000000B8D8: 20404090
	v_cmp_u_f32_e64 s[78:79], v35, v35                         // 00000000B8DC: D048004E 00024723
	v_bfe_u32 v228, v35, 16, 1                                 // 00000000B8E4: D1C800E4 02052123
	v_add3_u32 v228, v35, v228, v231                           // 00000000B8EC: D1FF00E4 079FC923
	v_cndmask_b32_e64 v33, v228, v230, s[78:79]                // 00000000B8F4: D1000021 013BCDE4
	v_and_or_b32 v192, v33, v229, v32                          // 00000000B8FC: D20100C0 0483CB21
	v_mov_b32_e32 v34, v206                                    // 00000000B904: 7E4403CE
	v_mov_b32_e32 v35, v207                                    // 00000000B908: 7E4603CF
	v_cmp_u_f32_e64 s[78:79], v34, v34                         // 00000000B90C: D048004E 00024522
	v_bfe_u32 v228, v34, 16, 1                                 // 00000000B914: D1C800E4 02052122
	v_add3_u32 v228, v34, v228, v231                           // 00000000B91C: D1FF00E4 079FC922
	v_cndmask_b32_e64 v32, v228, v230, s[78:79]                // 00000000B924: D1000020 013BCDE4
	v_lshrrev_b32_e32 v32, 16, v32                             // 00000000B92C: 20404090
	v_cmp_u_f32_e64 s[78:79], v35, v35                         // 00000000B930: D048004E 00024723
	v_bfe_u32 v228, v35, 16, 1                                 // 00000000B938: D1C800E4 02052123
	v_add3_u32 v228, v35, v228, v231                           // 00000000B940: D1FF00E4 079FC923
	v_cndmask_b32_e64 v33, v228, v230, s[78:79]                // 00000000B948: D1000021 013BCDE4
	v_and_or_b32 v193, v33, v229, v32                          // 00000000B950: D20100C1 0483CB21
	v_mov_b32_e32 v34, v208                                    // 00000000B958: 7E4403D0
	v_mov_b32_e32 v35, v209                                    // 00000000B95C: 7E4603D1
	v_cmp_u_f32_e64 s[78:79], v34, v34                         // 00000000B960: D048004E 00024522
	v_bfe_u32 v228, v34, 16, 1                                 // 00000000B968: D1C800E4 02052122
	v_add3_u32 v228, v34, v228, v231                           // 00000000B970: D1FF00E4 079FC922
	v_cndmask_b32_e64 v32, v228, v230, s[78:79]                // 00000000B978: D1000020 013BCDE4
	v_lshrrev_b32_e32 v32, 16, v32                             // 00000000B980: 20404090
	v_cmp_u_f32_e64 s[78:79], v35, v35                         // 00000000B984: D048004E 00024723
	v_bfe_u32 v228, v35, 16, 1                                 // 00000000B98C: D1C800E4 02052123
	v_add3_u32 v228, v35, v228, v231                           // 00000000B994: D1FF00E4 079FC923
	v_cndmask_b32_e64 v33, v228, v230, s[78:79]                // 00000000B99C: D1000021 013BCDE4
	v_and_or_b32 v194, v33, v229, v32                          // 00000000B9A4: D20100C2 0483CB21
	v_mov_b32_e32 v34, v210                                    // 00000000B9AC: 7E4403D2
	v_mov_b32_e32 v35, v211                                    // 00000000B9B0: 7E4603D3
	v_cmp_u_f32_e64 s[78:79], v34, v34                         // 00000000B9B4: D048004E 00024522
	v_bfe_u32 v228, v34, 16, 1                                 // 00000000B9BC: D1C800E4 02052122
	v_add3_u32 v228, v34, v228, v231                           // 00000000B9C4: D1FF00E4 079FC922
	v_cndmask_b32_e64 v32, v228, v230, s[78:79]                // 00000000B9CC: D1000020 013BCDE4
	v_lshrrev_b32_e32 v32, 16, v32                             // 00000000B9D4: 20404090
	v_cmp_u_f32_e64 s[78:79], v35, v35                         // 00000000B9D8: D048004E 00024723
	v_bfe_u32 v228, v35, 16, 1                                 // 00000000B9E0: D1C800E4 02052123
	v_add3_u32 v228, v35, v228, v231                           // 00000000B9E8: D1FF00E4 079FC923
	v_cndmask_b32_e64 v33, v228, v230, s[78:79]                // 00000000B9F0: D1000021 013BCDE4
	v_and_or_b32 v195, v33, v229, v32                          // 00000000B9F8: D20100C3 0483CB21
	ds_write_b64 v27, v[188:189] offset:8704                   // 00000000BA00: D89A2200 0000BC1B
	ds_write_b64 v27, v[190:191] offset:9248                   // 00000000BA08: D89A2420 0000BE1B
	ds_write_b64 v27, v[192:193] offset:9792                   // 00000000BA10: D89A2640 0000C01B
	ds_write_b64 v27, v[194:195] offset:10336                  // 00000000BA18: D89A2860 0000C21B
	s_waitcnt lgkmcnt(0)                                       // 00000000BA20: BF8CC07F
	s_barrier                                                  // 00000000BA24: BF8A0000
	ds_read_b64 v[188:189], v26 offset:8704                    // 00000000BA28: D8EC2200 BC00001A
	ds_read_b64 v[190:191], v26 offset:8832                    // 00000000BA30: D8EC2280 BE00001A
	ds_read_b64 v[192:193], v26 offset:8768                    // 00000000BA38: D8EC2240 C000001A
	ds_read_b64 v[194:195], v26 offset:8896                    // 00000000BA40: D8EC22C0 C200001A
	s_waitcnt lgkmcnt(0)                                       // 00000000BA48: BF8CC07F
	s_mov_b32 s70, s53                                         // 00000000BA4C: BEC60035
	buffer_store_dwordx4 v[188:191], v10, s[40:43], 0 idxen    // 00000000BA50: E07C2000 800ABC0A
	s_mul_i32 s60, 2, s70                                      // 00000000BA58: 923C4682
	v_add_u32_e32 v10, s60, v10                                // 00000000BA5C: 6814143C
	buffer_store_dwordx4 v[192:195], v10, s[40:43], 0 idxen    // 00000000BA60: E07C2000 800AC00A
	s_mul_i32 s60, 2, s70                                      // 00000000BA68: 923C4682
	v_add_u32_e32 v10, s60, v10                                // 00000000BA6C: 6814143C
	s_mul_i32 s60, 12, s70                                     // 00000000BA70: 923C468C
	v_add_u32_e32 v10, s60, v10                                // 00000000BA74: 6814143C
	s_cmp_ge_i32 2, s72                                        // 00000000BA78: BF034882
	s_cbranch_scc1 label_1F8C                                  // 00000000BA7C: BF8500C8
	v_mov_b32_e32 v34, v212                                    // 00000000BA80: 7E4403D4
	v_mov_b32_e32 v35, v213                                    // 00000000BA84: 7E4603D5
	v_cmp_u_f32_e64 s[78:79], v34, v34                         // 00000000BA88: D048004E 00024522
	v_bfe_u32 v228, v34, 16, 1                                 // 00000000BA90: D1C800E4 02052122
	v_add3_u32 v228, v34, v228, v231                           // 00000000BA98: D1FF00E4 079FC922
	v_cndmask_b32_e64 v32, v228, v230, s[78:79]                // 00000000BAA0: D1000020 013BCDE4
	v_lshrrev_b32_e32 v32, 16, v32                             // 00000000BAA8: 20404090
	v_cmp_u_f32_e64 s[78:79], v35, v35                         // 00000000BAAC: D048004E 00024723
	v_bfe_u32 v228, v35, 16, 1                                 // 00000000BAB4: D1C800E4 02052123
	v_add3_u32 v228, v35, v228, v231                           // 00000000BABC: D1FF00E4 079FC923
	v_cndmask_b32_e64 v33, v228, v230, s[78:79]                // 00000000BAC4: D1000021 013BCDE4
	v_and_or_b32 v196, v33, v229, v32                          // 00000000BACC: D20100C4 0483CB21
	v_mov_b32_e32 v34, v214                                    // 00000000BAD4: 7E4403D6
	v_mov_b32_e32 v35, v215                                    // 00000000BAD8: 7E4603D7
	v_cmp_u_f32_e64 s[78:79], v34, v34                         // 00000000BADC: D048004E 00024522
	v_bfe_u32 v228, v34, 16, 1                                 // 00000000BAE4: D1C800E4 02052122
	v_add3_u32 v228, v34, v228, v231                           // 00000000BAEC: D1FF00E4 079FC922
	v_cndmask_b32_e64 v32, v228, v230, s[78:79]                // 00000000BAF4: D1000020 013BCDE4
	v_lshrrev_b32_e32 v32, 16, v32                             // 00000000BAFC: 20404090
	v_cmp_u_f32_e64 s[78:79], v35, v35                         // 00000000BB00: D048004E 00024723
	v_bfe_u32 v228, v35, 16, 1                                 // 00000000BB08: D1C800E4 02052123
	v_add3_u32 v228, v35, v228, v231                           // 00000000BB10: D1FF00E4 079FC923
	v_cndmask_b32_e64 v33, v228, v230, s[78:79]                // 00000000BB18: D1000021 013BCDE4
	v_and_or_b32 v197, v33, v229, v32                          // 00000000BB20: D20100C5 0483CB21
	v_mov_b32_e32 v34, v216                                    // 00000000BB28: 7E4403D8
	v_mov_b32_e32 v35, v217                                    // 00000000BB2C: 7E4603D9
	v_cmp_u_f32_e64 s[78:79], v34, v34                         // 00000000BB30: D048004E 00024522
	v_bfe_u32 v228, v34, 16, 1                                 // 00000000BB38: D1C800E4 02052122
	v_add3_u32 v228, v34, v228, v231                           // 00000000BB40: D1FF00E4 079FC922
	v_cndmask_b32_e64 v32, v228, v230, s[78:79]                // 00000000BB48: D1000020 013BCDE4
	v_lshrrev_b32_e32 v32, 16, v32                             // 00000000BB50: 20404090
	v_cmp_u_f32_e64 s[78:79], v35, v35                         // 00000000BB54: D048004E 00024723
	v_bfe_u32 v228, v35, 16, 1                                 // 00000000BB5C: D1C800E4 02052123
	v_add3_u32 v228, v35, v228, v231                           // 00000000BB64: D1FF00E4 079FC923
	v_cndmask_b32_e64 v33, v228, v230, s[78:79]                // 00000000BB6C: D1000021 013BCDE4
	v_and_or_b32 v198, v33, v229, v32                          // 00000000BB74: D20100C6 0483CB21
	v_mov_b32_e32 v34, v218                                    // 00000000BB7C: 7E4403DA
	v_mov_b32_e32 v35, v219                                    // 00000000BB80: 7E4603DB
	v_cmp_u_f32_e64 s[78:79], v34, v34                         // 00000000BB84: D048004E 00024522
	v_bfe_u32 v228, v34, 16, 1                                 // 00000000BB8C: D1C800E4 02052122
	v_add3_u32 v228, v34, v228, v231                           // 00000000BB94: D1FF00E4 079FC922
	v_cndmask_b32_e64 v32, v228, v230, s[78:79]                // 00000000BB9C: D1000020 013BCDE4
	v_lshrrev_b32_e32 v32, 16, v32                             // 00000000BBA4: 20404090
	v_cmp_u_f32_e64 s[78:79], v35, v35                         // 00000000BBA8: D048004E 00024723
	v_bfe_u32 v228, v35, 16, 1                                 // 00000000BBB0: D1C800E4 02052123
	v_add3_u32 v228, v35, v228, v231                           // 00000000BBB8: D1FF00E4 079FC923
	v_cndmask_b32_e64 v33, v228, v230, s[78:79]                // 00000000BBC0: D1000021 013BCDE4
	v_and_or_b32 v199, v33, v229, v32                          // 00000000BBC8: D20100C7 0483CB21
	v_mov_b32_e32 v34, v220                                    // 00000000BBD0: 7E4403DC
	v_mov_b32_e32 v35, v221                                    // 00000000BBD4: 7E4603DD
	v_cmp_u_f32_e64 s[78:79], v34, v34                         // 00000000BBD8: D048004E 00024522
	v_bfe_u32 v228, v34, 16, 1                                 // 00000000BBE0: D1C800E4 02052122
	v_add3_u32 v228, v34, v228, v231                           // 00000000BBE8: D1FF00E4 079FC922
	v_cndmask_b32_e64 v32, v228, v230, s[78:79]                // 00000000BBF0: D1000020 013BCDE4
	v_lshrrev_b32_e32 v32, 16, v32                             // 00000000BBF8: 20404090
	v_cmp_u_f32_e64 s[78:79], v35, v35                         // 00000000BBFC: D048004E 00024723
	v_bfe_u32 v228, v35, 16, 1                                 // 00000000BC04: D1C800E4 02052123
	v_add3_u32 v228, v35, v228, v231                           // 00000000BC0C: D1FF00E4 079FC923
	v_cndmask_b32_e64 v33, v228, v230, s[78:79]                // 00000000BC14: D1000021 013BCDE4
	v_and_or_b32 v200, v33, v229, v32                          // 00000000BC1C: D20100C8 0483CB21
	v_mov_b32_e32 v34, v222                                    // 00000000BC24: 7E4403DE
	v_mov_b32_e32 v35, v223                                    // 00000000BC28: 7E4603DF
	v_cmp_u_f32_e64 s[78:79], v34, v34                         // 00000000BC2C: D048004E 00024522
	v_bfe_u32 v228, v34, 16, 1                                 // 00000000BC34: D1C800E4 02052122
	v_add3_u32 v228, v34, v228, v231                           // 00000000BC3C: D1FF00E4 079FC922
	v_cndmask_b32_e64 v32, v228, v230, s[78:79]                // 00000000BC44: D1000020 013BCDE4
	v_lshrrev_b32_e32 v32, 16, v32                             // 00000000BC4C: 20404090
	v_cmp_u_f32_e64 s[78:79], v35, v35                         // 00000000BC50: D048004E 00024723
	v_bfe_u32 v228, v35, 16, 1                                 // 00000000BC58: D1C800E4 02052123
	v_add3_u32 v228, v35, v228, v231                           // 00000000BC60: D1FF00E4 079FC923
	v_cndmask_b32_e64 v33, v228, v230, s[78:79]                // 00000000BC68: D1000021 013BCDE4
	v_and_or_b32 v201, v33, v229, v32                          // 00000000BC70: D20100C9 0483CB21
	v_mov_b32_e32 v34, v224                                    // 00000000BC78: 7E4403E0
	v_mov_b32_e32 v35, v225                                    // 00000000BC7C: 7E4603E1
	v_cmp_u_f32_e64 s[78:79], v34, v34                         // 00000000BC80: D048004E 00024522
	v_bfe_u32 v228, v34, 16, 1                                 // 00000000BC88: D1C800E4 02052122
	v_add3_u32 v228, v34, v228, v231                           // 00000000BC90: D1FF00E4 079FC922
	v_cndmask_b32_e64 v32, v228, v230, s[78:79]                // 00000000BC98: D1000020 013BCDE4
	v_lshrrev_b32_e32 v32, 16, v32                             // 00000000BCA0: 20404090
	v_cmp_u_f32_e64 s[78:79], v35, v35                         // 00000000BCA4: D048004E 00024723
	v_bfe_u32 v228, v35, 16, 1                                 // 00000000BCAC: D1C800E4 02052123
	v_add3_u32 v228, v35, v228, v231                           // 00000000BCB4: D1FF00E4 079FC923
	v_cndmask_b32_e64 v33, v228, v230, s[78:79]                // 00000000BCBC: D1000021 013BCDE4
	v_and_or_b32 v202, v33, v229, v32                          // 00000000BCC4: D20100CA 0483CB21
	v_mov_b32_e32 v34, v226                                    // 00000000BCCC: 7E4403E2
	v_mov_b32_e32 v35, v227                                    // 00000000BCD0: 7E4603E3
	v_cmp_u_f32_e64 s[78:79], v34, v34                         // 00000000BCD4: D048004E 00024522
	v_bfe_u32 v228, v34, 16, 1                                 // 00000000BCDC: D1C800E4 02052122
	v_add3_u32 v228, v34, v228, v231                           // 00000000BCE4: D1FF00E4 079FC922
	v_cndmask_b32_e64 v32, v228, v230, s[78:79]                // 00000000BCEC: D1000020 013BCDE4
	v_lshrrev_b32_e32 v32, 16, v32                             // 00000000BCF4: 20404090
	v_cmp_u_f32_e64 s[78:79], v35, v35                         // 00000000BCF8: D048004E 00024723
	v_bfe_u32 v228, v35, 16, 1                                 // 00000000BD00: D1C800E4 02052123
	v_add3_u32 v228, v35, v228, v231                           // 00000000BD08: D1FF00E4 079FC923
	v_cndmask_b32_e64 v33, v228, v230, s[78:79]                // 00000000BD10: D1000021 013BCDE4
	v_and_or_b32 v203, v33, v229, v32                          // 00000000BD18: D20100CB 0483CB21
	ds_write_b64 v27, v[196:197] offset:17408                  // 00000000BD20: D89A4400 0000C41B
	ds_write_b64 v27, v[198:199] offset:17952                  // 00000000BD28: D89A4620 0000C61B
	ds_write_b64 v27, v[200:201] offset:18496                  // 00000000BD30: D89A4840 0000C81B
	ds_write_b64 v27, v[202:203] offset:19040                  // 00000000BD38: D89A4A60 0000CA1B
	s_waitcnt lgkmcnt(0)                                       // 00000000BD40: BF8CC07F
	s_barrier                                                  // 00000000BD44: BF8A0000
	ds_read_b64 v[196:197], v26 offset:17408                   // 00000000BD48: D8EC4400 C400001A
	ds_read_b64 v[198:199], v26 offset:17536                   // 00000000BD50: D8EC4480 C600001A
	ds_read_b64 v[200:201], v26 offset:17472                   // 00000000BD58: D8EC4440 C800001A
	ds_read_b64 v[202:203], v26 offset:17600                   // 00000000BD60: D8EC44C0 CA00001A
	s_waitcnt lgkmcnt(0)                                       // 00000000BD68: BF8CC07F
	s_mov_b32 s70, s53                                         // 00000000BD6C: BEC60035
	buffer_store_dwordx4 v[196:199], v10, s[40:43], 0 idxen    // 00000000BD70: E07C2000 800AC40A
	s_mul_i32 s60, 2, s70                                      // 00000000BD78: 923C4682
	v_add_u32_e32 v10, s60, v10                                // 00000000BD7C: 6814143C
	buffer_store_dwordx4 v[200:203], v10, s[40:43], 0 idxen    // 00000000BD80: E07C2000 800AC80A
	s_mul_i32 s60, 2, s70                                      // 00000000BD88: 923C4682
	v_add_u32_e32 v10, s60, v10                                // 00000000BD8C: 6814143C
	s_mul_i32 s60, 12, s70                                     // 00000000BD90: 923C468C
	v_add_u32_e32 v10, s60, v10                                // 00000000BD94: 6814143C
	s_cmp_ge_i32 3, s72                                        // 00000000BD98: BF034883
	s_cbranch_scc1 label_1F8C                                  // 00000000BD9C: BF850000

000000000000bda0 <label_1F8C>:
	s_waitcnt vmcnt(0) expcnt(0) lgkmcnt(0)                    // 00000000BDA0: BF8C0000
	s_sub_i32 s60, s77, 1                                      // 00000000BDA4: 81BC814D
	s_sub_i32 s2, s60, s2                                      // 00000000BDA8: 8182023C
	s_addk_i32 s75, 0x1                                        // 00000000BDAC: B74B0001
	s_cmp_lt_i32 s75, s76                                      // 00000000BDB0: BF044C4B
	s_cbranch_scc1 label_0161                                  // 00000000BDB4: BF85E1F3

000000000000bdb8 <label_1F92>:
	s_waitcnt vmcnt(0) expcnt(0) lgkmcnt(0)                    // 00000000BDB8: BF8C0000
	s_endpgm                                                   // 00000000BDBC: BF810000
